;; amdgpu-corpus repo=ROCm/rocFFT kind=compiled arch=gfx1201 opt=O3
	.text
	.amdgcn_target "amdgcn-amd-amdhsa--gfx1201"
	.amdhsa_code_object_version 6
	.protected	bluestein_single_fwd_len1365_dim1_sp_op_CI_CI ; -- Begin function bluestein_single_fwd_len1365_dim1_sp_op_CI_CI
	.globl	bluestein_single_fwd_len1365_dim1_sp_op_CI_CI
	.p2align	8
	.type	bluestein_single_fwd_len1365_dim1_sp_op_CI_CI,@function
bluestein_single_fwd_len1365_dim1_sp_op_CI_CI: ; @bluestein_single_fwd_len1365_dim1_sp_op_CI_CI
; %bb.0:
	s_load_b128 s[12:15], s[0:1], 0x28
	v_mul_u32_u24_e32 v1, 0x2d1, v0
	v_mov_b32_e32 v131, 0
	s_mov_b32 s2, exec_lo
	s_delay_alu instid0(VALU_DEP_2) | instskip(NEXT) | instid1(VALU_DEP_1)
	v_lshrrev_b32_e32 v2, 16, v1
	v_lshl_add_u32 v130, ttmp9, 1, v2
	s_wait_kmcnt 0x0
	s_delay_alu instid0(VALU_DEP_1)
	v_cmpx_gt_u64_e64 s[12:13], v[130:131]
	s_cbranch_execz .LBB0_23
; %bb.1:
	s_clause 0x1
	s_load_b128 s[4:7], s[0:1], 0x18
	s_load_b64 s[12:13], s[0:1], 0x0
	v_mul_lo_u16 v1, 0x5b, v2
	s_delay_alu instid0(VALU_DEP_1)
	v_sub_nc_u16 v37, v0, v1
	s_wait_kmcnt 0x0
	s_load_b128 s[8:11], s[4:5], 0x0
	s_wait_kmcnt 0x0
	v_mad_co_u64_u32 v[0:1], null, s10, v130, 0
	s_mul_u64 s[2:3], s[8:9], 0x69
	s_delay_alu instid0(VALU_DEP_1) | instskip(NEXT) | instid1(VALU_DEP_1)
	v_mad_co_u64_u32 v[5:6], null, s11, v130, v[1:2]
	v_dual_mov_b32 v1, v5 :: v_dual_and_b32 v154, 0xffff, v37
	s_delay_alu instid0(VALU_DEP_1)
	v_mad_co_u64_u32 v[3:4], null, s8, v154, 0
	v_lshlrev_b32_e32 v98, 3, v154
	s_clause 0x3
	global_load_b64 v[145:146], v98, s[12:13]
	global_load_b64 v[147:148], v98, s[12:13] offset:840
	global_load_b64 v[143:144], v98, s[12:13] offset:1680
	;; [unrolled: 1-line block ×3, first 2 shown]
	v_mad_co_u64_u32 v[6:7], null, s9, v154, v[4:5]
	v_lshlrev_b64_e32 v[0:1], 3, v[0:1]
	s_clause 0x6
	global_load_b64 v[141:142], v98, s[12:13] offset:3360
	global_load_b64 v[126:127], v98, s[12:13] offset:4200
	;; [unrolled: 1-line block ×7, first 2 shown]
	v_add_co_u32 v0, vcc_lo, s14, v0
	v_mov_b32_e32 v4, v6
	v_add_co_ci_u32_e32 v1, vcc_lo, s15, v1, vcc_lo
	s_lshl_b64 s[14:15], s[2:3], 3
	s_delay_alu instid0(VALU_DEP_2) | instskip(NEXT) | instid1(VALU_DEP_1)
	v_lshlrev_b64_e32 v[3:4], 3, v[3:4]
	v_add_co_u32 v0, vcc_lo, v0, v3
	s_wait_alu 0xfffd
	s_delay_alu instid0(VALU_DEP_2) | instskip(SKIP_1) | instid1(VALU_DEP_2)
	v_add_co_ci_u32_e32 v1, vcc_lo, v1, v4, vcc_lo
	s_wait_alu 0xfffe
	v_add_co_u32 v3, vcc_lo, v0, s14
	s_wait_alu 0xfffd
	s_delay_alu instid0(VALU_DEP_2)
	v_add_co_ci_u32_e32 v4, vcc_lo, s15, v1, vcc_lo
	s_clause 0x1
	global_load_b64 v[9:10], v[0:1], off
	global_load_b64 v[11:12], v[3:4], off
	v_add_co_u32 v5, vcc_lo, v3, s14
	s_wait_alu 0xfffd
	v_add_co_ci_u32_e32 v6, vcc_lo, s15, v4, vcc_lo
	s_delay_alu instid0(VALU_DEP_2) | instskip(SKIP_1) | instid1(VALU_DEP_2)
	v_add_co_u32 v7, vcc_lo, v5, s14
	s_wait_alu 0xfffd
	v_add_co_ci_u32_e32 v8, vcc_lo, s15, v6, vcc_lo
	s_delay_alu instid0(VALU_DEP_2) | instskip(SKIP_1) | instid1(VALU_DEP_2)
	v_add_co_u32 v0, vcc_lo, v7, s14
	s_wait_alu 0xfffd
	v_add_co_ci_u32_e32 v1, vcc_lo, s15, v8, vcc_lo
	s_clause 0x1
	global_load_b64 v[13:14], v[5:6], off
	global_load_b64 v[7:8], v[7:8], off
	v_add_co_u32 v3, vcc_lo, v0, s14
	s_wait_alu 0xfffd
	v_add_co_ci_u32_e32 v4, vcc_lo, s15, v1, vcc_lo
	global_load_b64 v[15:16], v[0:1], off
	v_add_co_u32 v0, vcc_lo, v3, s14
	s_wait_alu 0xfffd
	v_add_co_ci_u32_e32 v1, vcc_lo, s15, v4, vcc_lo
	;; [unrolled: 4-line block ×8, first 2 shown]
	s_wait_loadcnt 0xa
	v_mul_f32_e32 v33, v10, v146
	s_wait_loadcnt 0x9
	v_mul_f32_e32 v35, v12, v148
	global_load_b64 v[135:136], v98, s[12:13] offset:9240
	global_load_b64 v[29:30], v[3:4], off
	global_load_b64 v[137:138], v98, s[12:13] offset:10080
	global_load_b64 v[31:32], v[0:1], off
	v_and_b32_e32 v2, 1, v2
	v_mul_f32_e32 v6, v9, v146
	v_fmac_f32_e32 v33, v9, v145
	s_load_b64 s[10:11], s[0:1], 0x38
	s_load_b128 s[4:7], s[6:7], 0x0
	v_add_co_u32 v120, s2, s12, v98
	v_cmp_eq_u32_e32 vcc_lo, 1, v2
	v_add_co_ci_u32_e64 v121, null, s13, 0, s2
	v_mul_f32_e32 v36, v11, v148
	v_fmac_f32_e32 v35, v11, v147
	s_wait_alu 0xfffd
	v_cndmask_b32_e64 v2, 0, 0x555, vcc_lo
	s_wait_loadcnt 0xc
	v_mul_f32_e32 v9, v14, v144
	v_fma_f32 v34, v10, v145, -v6
	v_mul_f32_e32 v10, v13, v144
	s_wait_loadcnt 0xb
	v_mul_f32_e32 v11, v8, v140
	v_lshlrev_b32_e32 v155, 3, v2
	v_fmac_f32_e32 v9, v13, v143
	v_cmp_gt_u16_e32 vcc_lo, 14, v37
	v_fma_f32 v10, v14, v143, -v10
	s_wait_loadcnt 0xa
	v_mul_f32_e32 v14, v15, v142
	v_add_nc_u32_e32 v153, v155, v98
	v_fma_f32 v36, v12, v147, -v36
	v_mul_f32_e32 v12, v7, v140
	v_fmac_f32_e32 v11, v7, v139
	v_mul_f32_e32 v7, v16, v142
	v_add_nc_u32_e32 v5, 0x400, v153
	v_add_nc_u32_e32 v2, 0x1000, v153
	;; [unrolled: 1-line block ×4, first 2 shown]
	ds_store_2addr_b64 v153, v[33:34], v[35:36] offset1:105
	s_wait_loadcnt 0x9
	v_mul_f32_e32 v13, v18, v127
	v_mul_f32_e32 v33, v17, v127
	v_fma_f32 v12, v8, v139, -v12
	v_fmac_f32_e32 v7, v15, v141
	v_fma_f32 v8, v16, v141, -v14
	v_dual_fmac_f32 v13, v17, v126 :: v_dual_add_nc_u32 v4, 0x1800, v153
	s_wait_loadcnt 0x4
	v_mul_f32_e32 v16, v27, v125
	v_fma_f32 v14, v18, v126, -v33
	v_mul_f32_e32 v15, v28, v125
	s_delay_alu instid0(VALU_DEP_3) | instskip(NEXT) | instid1(VALU_DEP_2)
	v_fma_f32 v16, v28, v124, -v16
	v_fmac_f32_e32 v15, v27, v124
	s_wait_loadcnt 0x2
	v_mul_f32_e32 v18, v29, v136
	ds_store_2addr_b64 v3, v[7:8], v[13:14] offset0:36 offset1:141
	v_mul_f32_e32 v8, v21, v134
	ds_store_2addr_b64 v5, v[9:10], v[11:12] offset0:82 offset1:187
	v_mul_f32_e32 v9, v20, v132
	v_dual_mul_f32 v10, v19, v132 :: v_dual_mul_f32 v11, v22, v134
	v_mul_f32_e32 v7, v24, v123
	v_fma_f32 v12, v22, v133, -v8
	v_dual_mul_f32 v8, v23, v123 :: v_dual_mul_f32 v13, v26, v129
	v_dual_mul_f32 v14, v25, v129 :: v_dual_mul_f32 v17, v30, v136
	v_fma_f32 v10, v20, v131, -v10
	s_wait_loadcnt 0x0
	v_mul_f32_e32 v20, v31, v138
	v_fmac_f32_e32 v9, v19, v131
	v_mul_f32_e32 v19, v32, v138
	v_fmac_f32_e32 v11, v21, v133
	v_fmac_f32_e32 v7, v23, v122
	v_fma_f32 v8, v24, v122, -v8
	v_fmac_f32_e32 v13, v25, v128
	v_fma_f32 v14, v26, v128, -v14
	v_fmac_f32_e32 v17, v29, v135
	v_fma_f32 v18, v30, v135, -v18
	v_fmac_f32_e32 v19, v31, v137
	v_fma_f32 v20, v32, v137, -v20
	ds_store_2addr_b64 v2, v[9:10], v[11:12] offset0:118 offset1:223
	ds_store_2addr_b64 v4, v[7:8], v[13:14] offset0:72 offset1:177
	;; [unrolled: 1-line block ×3, first 2 shown]
	ds_store_b64 v153, v[19:20] offset:10080
	s_and_saveexec_b32 s3, vcc_lo
	s_cbranch_execz .LBB0_3
; %bb.2:
	v_mad_co_u64_u32 v[0:1], null, 0xffffdb78, s8, v[0:1]
	s_mul_i32 s2, s9, 0xffffdb78
	s_clause 0x3
	global_load_b64 v[13:14], v[120:121], off offset:728
	global_load_b64 v[15:16], v[120:121], off offset:1568
	;; [unrolled: 1-line block ×4, first 2 shown]
	s_wait_alu 0xfffe
	s_sub_co_i32 s2, s2, s8
	v_add_nc_u32_e32 v60, 0x1400, v153
	s_wait_alu 0xfffe
	v_add_nc_u32_e32 v1, s2, v1
	v_add_co_u32 v7, s2, v0, s14
	s_wait_alu 0xf1ff
	s_delay_alu instid0(VALU_DEP_2) | instskip(NEXT) | instid1(VALU_DEP_2)
	v_add_co_ci_u32_e64 v8, s2, s15, v1, s2
	v_add_co_u32 v9, s2, v7, s14
	global_load_b64 v[0:1], v[0:1], off
	s_wait_alu 0xf1ff
	v_add_co_ci_u32_e64 v10, s2, s15, v8, s2
	v_add_co_u32 v11, s2, v9, s14
	s_wait_alu 0xf1ff
	s_delay_alu instid0(VALU_DEP_2) | instskip(NEXT) | instid1(VALU_DEP_2)
	v_add_co_ci_u32_e64 v12, s2, s15, v10, s2
	v_add_co_u32 v21, s2, v11, s14
	s_wait_alu 0xf1ff
	s_delay_alu instid0(VALU_DEP_2) | instskip(NEXT) | instid1(VALU_DEP_2)
	v_add_co_ci_u32_e64 v22, s2, s15, v12, s2
	v_add_co_u32 v23, s2, v21, s14
	s_wait_alu 0xf1ff
	s_delay_alu instid0(VALU_DEP_2)
	v_add_co_ci_u32_e64 v24, s2, s15, v22, s2
	global_load_b64 v[7:8], v[7:8], off
	global_load_b64 v[9:10], v[9:10], off
	;; [unrolled: 1-line block ×5, first 2 shown]
	v_add_co_u32 v23, s2, v23, s14
	s_wait_alu 0xf1ff
	v_add_co_ci_u32_e64 v24, s2, s15, v24, s2
	s_clause 0x1
	global_load_b64 v[27:28], v[120:121], off offset:4088
	global_load_b64 v[29:30], v[120:121], off offset:4928
	v_add_co_u32 v31, s2, v23, s14
	s_wait_alu 0xf1ff
	v_add_co_ci_u32_e64 v32, s2, s15, v24, s2
	global_load_b64 v[23:24], v[23:24], off
	v_add_co_u32 v33, s2, v31, s14
	s_wait_alu 0xf1ff
	v_add_co_ci_u32_e64 v34, s2, s15, v32, s2
	global_load_b64 v[31:32], v[31:32], off
	v_add_co_u32 v35, s2, v33, s14
	s_wait_alu 0xf1ff
	v_add_co_ci_u32_e64 v36, s2, s15, v34, s2
	s_clause 0x1
	global_load_b64 v[37:38], v[120:121], off offset:5768
	global_load_b64 v[39:40], v[120:121], off offset:6608
	v_add_co_u32 v41, s2, v35, s14
	s_wait_alu 0xf1ff
	v_add_co_ci_u32_e64 v42, s2, s15, v36, s2
	global_load_b64 v[33:34], v[33:34], off
	global_load_b64 v[35:36], v[35:36], off
	s_clause 0x1
	global_load_b64 v[43:44], v[120:121], off offset:7448
	global_load_b64 v[45:46], v[120:121], off offset:8288
	global_load_b64 v[47:48], v[41:42], off
	v_add_co_u32 v41, s2, v41, s14
	s_wait_alu 0xf1ff
	v_add_co_ci_u32_e64 v42, s2, s15, v42, s2
	global_load_b64 v[49:50], v[120:121], off offset:9128
	v_add_co_u32 v51, s2, v41, s14
	s_wait_alu 0xf1ff
	v_add_co_ci_u32_e64 v52, s2, s15, v42, s2
	global_load_b64 v[41:42], v[41:42], off
	s_clause 0x1
	global_load_b64 v[53:54], v[120:121], off offset:9968
	global_load_b64 v[55:56], v[120:121], off offset:10808
	global_load_b64 v[51:52], v[51:52], off
	v_add_nc_u32_e32 v59, 0x800, v153
	s_wait_loadcnt 0x15
	v_mul_f32_e32 v57, v1, v14
	v_mul_f32_e32 v58, v0, v14
	s_delay_alu instid0(VALU_DEP_2) | instskip(NEXT) | instid1(VALU_DEP_2)
	v_fmac_f32_e32 v57, v0, v13
	v_fma_f32 v58, v1, v13, -v58
	s_wait_loadcnt 0x14
	v_mul_f32_e32 v14, v8, v16
	s_wait_loadcnt 0x13
	v_dual_mul_f32 v0, v10, v18 :: v_dual_add_nc_u32 v61, 0x1c00, v153
	v_mul_f32_e32 v1, v7, v16
	s_wait_loadcnt 0x12
	v_dual_mul_f32 v13, v9, v18 :: v_dual_mul_f32 v16, v11, v20
	v_dual_fmac_f32 v14, v7, v15 :: v_dual_mul_f32 v7, v12, v20
	v_fmac_f32_e32 v0, v9, v17
	v_fma_f32 v15, v8, v15, -v1
	s_delay_alu instid0(VALU_DEP_4)
	v_fma_f32 v1, v10, v17, -v13
	v_fma_f32 v8, v12, v19, -v16
	s_wait_loadcnt 0xf
	v_dual_fmac_f32 v7, v11, v19 :: v_dual_mul_f32 v10, v21, v28
	ds_store_2addr_b64 v153, v[57:58], v[14:15] offset0:91 offset1:196
	s_wait_loadcnt 0xe
	v_mul_f32_e32 v11, v26, v30
	v_mul_f32_e32 v9, v22, v28
	ds_store_2addr_b64 v59, v[0:1], v[7:8] offset0:45 offset1:150
	v_mul_f32_e32 v1, v25, v30
	v_fma_f32 v10, v22, v27, -v10
	s_wait_loadcnt 0xa
	v_dual_mul_f32 v8, v23, v38 :: v_dual_mul_f32 v7, v32, v40
	v_mul_f32_e32 v14, v31, v40
	v_dual_mul_f32 v0, v24, v38 :: v_dual_fmac_f32 v11, v25, v29
	s_wait_loadcnt 0x6
	v_dual_mul_f32 v16, v35, v46 :: v_dual_mul_f32 v13, v34, v44
	v_mul_f32_e32 v15, v36, v46
	s_delay_alu instid0(VALU_DEP_3) | instskip(NEXT) | instid1(VALU_DEP_3)
	v_dual_fmac_f32 v9, v21, v27 :: v_dual_fmac_f32 v0, v23, v37
	v_fma_f32 v16, v36, v45, -v16
	s_wait_loadcnt 0x4
	v_mul_f32_e32 v18, v47, v50
	v_fmac_f32_e32 v7, v31, v39
	v_mul_f32_e32 v17, v48, v50
	s_wait_loadcnt 0x2
	v_mul_f32_e32 v19, v42, v54
	v_mul_f32_e32 v20, v41, v54
	s_wait_loadcnt 0x0
	v_mul_f32_e32 v22, v51, v56
	v_fma_f32 v12, v26, v29, -v1
	v_fma_f32 v1, v24, v37, -v8
	;; [unrolled: 1-line block ×3, first 2 shown]
	v_mul_f32_e32 v14, v33, v44
	v_mul_f32_e32 v21, v52, v56
	v_fmac_f32_e32 v13, v33, v43
	v_fmac_f32_e32 v15, v35, v45
	;; [unrolled: 1-line block ×3, first 2 shown]
	v_fma_f32 v14, v34, v43, -v14
	v_fma_f32 v18, v48, v49, -v18
	v_fmac_f32_e32 v19, v41, v53
	v_fma_f32 v20, v42, v53, -v20
	v_fmac_f32_e32 v21, v51, v55
	v_fma_f32 v22, v52, v55, -v22
	ds_store_2addr_b64 v3, v[9:10], v[11:12] offset0:127 offset1:232
	ds_store_2addr_b64 v60, v[0:1], v[7:8] offset0:81 offset1:186
	;; [unrolled: 1-line block ×4, first 2 shown]
	ds_store_b64 v153, v[21:22] offset:10808
.LBB0_3:
	s_wait_alu 0xfffe
	s_or_b32 exec_lo, exec_lo, s3
	global_wb scope:SCOPE_SE
	s_wait_dscnt 0x0
	s_wait_kmcnt 0x0
	s_barrier_signal -1
	s_barrier_wait -1
	global_inv scope:SCOPE_SE
	ds_load_2addr_b64 v[44:47], v153 offset1:105
	ds_load_2addr_b64 v[36:39], v5 offset0:82 offset1:187
	ds_load_2addr_b64 v[28:31], v3 offset0:36 offset1:141
	;; [unrolled: 1-line block ×5, first 2 shown]
	ds_load_b64 v[50:51], v153 offset:10080
	v_mov_b32_e32 v0, 0
	v_mov_b32_e32 v1, 0
                                        ; implicit-def: $vgpr10
                                        ; implicit-def: $vgpr4
                                        ; implicit-def: $vgpr12
                                        ; implicit-def: $vgpr48
                                        ; implicit-def: $vgpr18
                                        ; implicit-def: $vgpr22
	s_and_saveexec_b32 s2, vcc_lo
	s_cbranch_execz .LBB0_5
; %bb.4:
	v_add_nc_u32_e32 v4, 0x800, v153
	v_add_nc_u32_e32 v5, 0xc00, v153
	;; [unrolled: 1-line block ×5, first 2 shown]
	ds_load_2addr_b64 v[0:3], v153 offset0:91 offset1:196
	ds_load_2addr_b64 v[20:23], v4 offset0:45 offset1:150
	;; [unrolled: 1-line block ×6, first 2 shown]
	ds_load_b64 v[48:49], v153 offset:10808
.LBB0_5:
	s_wait_alu 0xfffe
	s_or_b32 exec_lo, exec_lo, s2
	s_wait_dscnt 0x6
	v_dual_add_f32 v52, v44, v46 :: v_dual_add_f32 v53, v45, v47
	s_load_b64 s[2:3], s[0:1], 0x8
	v_add_co_u32 v92, s0, 0x5b, v154
	s_wait_dscnt 0x5
	s_delay_alu instid0(VALU_DEP_2)
	v_dual_add_f32 v52, v52, v36 :: v_dual_add_f32 v53, v53, v37
	s_wait_alu 0xf1ff
	v_add_co_ci_u32_e64 v54, null, 0, 0, s0
	s_wait_dscnt 0x0
	v_dual_add_f32 v54, v50, v46 :: v_dual_sub_f32 v55, v47, v51
	v_dual_add_f32 v52, v52, v38 :: v_dual_add_f32 v53, v53, v39
	v_sub_f32_e32 v56, v46, v50
	v_mul_u32_u24_e32 v157, 13, v92
	s_delay_alu instid0(VALU_DEP_4) | instskip(NEXT) | instid1(VALU_DEP_4)
	v_mul_f32_e32 v60, 0xbf7e222b, v55
	v_add_f32_e32 v46, v52, v28
	v_dual_add_f32 v52, v53, v29 :: v_dual_add_f32 v53, v51, v47
	v_mul_f32_e32 v57, 0xbeedf032, v56
	s_delay_alu instid0(VALU_DEP_3) | instskip(NEXT) | instid1(VALU_DEP_3)
	v_dual_mul_f32 v47, 0xbeedf032, v55 :: v_dual_add_f32 v46, v46, v30
	v_dual_mul_f32 v59, 0xbf52af12, v56 :: v_dual_add_f32 v52, v52, v31
	v_mul_f32_e32 v61, 0xbf7e222b, v56
	s_delay_alu instid0(VALU_DEP_3) | instskip(NEXT) | instid1(VALU_DEP_4)
	v_fma_f32 v62, 0x3f62ad3f, v54, -v47
	v_dual_add_f32 v46, v46, v24 :: v_dual_fmamk_f32 v63, v53, 0x3f62ad3f, v57
	s_delay_alu instid0(VALU_DEP_4) | instskip(NEXT) | instid1(VALU_DEP_2)
	v_dual_add_f32 v52, v52, v25 :: v_dual_fmac_f32 v47, 0x3f62ad3f, v54
	v_dual_fmamk_f32 v65, v53, 0x3f116cb1, v59 :: v_dual_add_f32 v46, v46, v26
	v_fma_f32 v59, 0x3f116cb1, v53, -v59
	s_delay_alu instid0(VALU_DEP_3) | instskip(SKIP_3) | instid1(VALU_DEP_4)
	v_add_f32_e32 v52, v52, v27
	v_fma_f32 v57, 0x3f62ad3f, v53, -v57
	v_mul_f32_e32 v58, 0xbf52af12, v55
	v_dual_add_f32 v46, v46, v32 :: v_dual_add_f32 v63, v45, v63
	v_dual_add_f32 v52, v52, v33 :: v_dual_add_f32 v59, v45, v59
	v_add_f32_e32 v67, v44, v47
	v_add_f32_e32 v57, v45, v57
	v_fma_f32 v64, 0x3f116cb1, v54, -v58
	s_delay_alu instid0(VALU_DEP_4)
	v_add_f32_e32 v52, v52, v35
	v_fmac_f32_e32 v58, 0x3f116cb1, v54
	v_mul_f32_e32 v69, 0xbf29c268, v55
	v_fma_f32 v66, 0x3df6dbef, v54, -v60
	global_wb scope:SCOPE_SE
	v_add_f32_e32 v52, v52, v41
	v_add_f32_e32 v46, v46, v34
	v_fma_f32 v72, 0xbf3f9e67, v54, -v69
	v_sub_f32_e32 v75, v37, v43
	s_wait_kmcnt 0x0
	s_barrier_signal -1
	v_add_f32_e32 v47, v52, v43
	v_add_f32_e32 v62, v44, v62
	v_dual_add_f32 v52, v45, v65 :: v_dual_add_f32 v65, v44, v66
	s_delay_alu instid0(VALU_DEP_3) | instskip(SKIP_2) | instid1(VALU_DEP_3)
	v_dual_fmac_f32 v60, 0x3df6dbef, v54 :: v_dual_add_f32 v47, v47, v51
	v_dual_fmamk_f32 v51, v53, 0x3df6dbef, v61 :: v_dual_add_f32 v46, v46, v40
	v_mul_f32_e32 v71, 0xbf29c268, v56
	v_dual_add_f32 v60, v44, v60 :: v_dual_fmac_f32 v69, 0xbf3f9e67, v54
	s_delay_alu instid0(VALU_DEP_3) | instskip(SKIP_1) | instid1(VALU_DEP_4)
	v_dual_add_f32 v51, v45, v51 :: v_dual_add_f32 v46, v46, v42
	v_add_f32_e32 v77, v42, v36
	v_dual_add_f32 v64, v44, v64 :: v_dual_fmamk_f32 v73, v53, 0xbf3f9e67, v71
	v_add_f32_e32 v58, v44, v58
	s_delay_alu instid0(VALU_DEP_4) | instskip(SKIP_3) | instid1(VALU_DEP_3)
	v_dual_add_f32 v46, v46, v50 :: v_dual_add_f32 v69, v44, v69
	v_mul_f32_e32 v50, 0xbf6f5d39, v55
	v_dual_mul_f32 v55, 0xbe750f2a, v55 :: v_dual_add_f32 v72, v44, v72
	v_dual_add_f32 v37, v43, v37 :: v_dual_sub_f32 v36, v36, v42
	v_fma_f32 v66, 0xbeb58ec6, v54, -v50
	v_fmac_f32_e32 v50, 0xbeb58ec6, v54
	s_delay_alu instid0(VALU_DEP_4) | instskip(SKIP_1) | instid1(VALU_DEP_4)
	v_fma_f32 v74, 0xbf788fa5, v54, -v55
	v_fmac_f32_e32 v55, 0xbf788fa5, v54
	v_dual_mul_f32 v43, 0xbf52af12, v36 :: v_dual_add_f32 v66, v44, v66
	s_delay_alu instid0(VALU_DEP_4)
	v_add_f32_e32 v50, v44, v50
	v_fma_f32 v71, 0xbf3f9e67, v53, -v71
	v_mul_f32_e32 v68, 0xbf6f5d39, v56
	v_add_f32_e32 v74, v44, v74
	v_add_f32_e32 v44, v44, v55
	v_fmamk_f32 v54, v37, 0x3f116cb1, v43
	v_fma_f32 v43, 0x3f116cb1, v37, -v43
	v_mul_f32_e32 v55, 0xbf6f5d39, v36
	v_add_f32_e32 v71, v45, v71
	v_fmamk_f32 v70, v53, 0xbeb58ec6, v68
	v_add_f32_e32 v73, v45, v73
	v_add_f32_e32 v43, v43, v57
	v_fmamk_f32 v57, v37, 0xbeb58ec6, v55
	v_mul_f32_e32 v56, 0xbe750f2a, v56
	v_mul_f32_e32 v78, 0xbf52af12, v75
	v_fma_f32 v55, 0xbeb58ec6, v37, -v55
	v_fma_f32 v61, 0x3df6dbef, v53, -v61
	v_add_f32_e32 v52, v57, v52
	v_mul_f32_e32 v57, 0xbe750f2a, v36
	v_fma_f32 v68, 0xbeb58ec6, v53, -v68
	v_dual_fmamk_f32 v76, v53, 0xbf788fa5, v56 :: v_dual_add_f32 v55, v55, v59
	v_fma_f32 v42, 0xbf788fa5, v53, -v56
	v_fma_f32 v53, 0x3f116cb1, v77, -v78
	v_fmamk_f32 v59, v37, 0xbf788fa5, v57
	v_add_f32_e32 v61, v45, v61
	v_add_f32_e32 v70, v45, v70
	;; [unrolled: 1-line block ×3, first 2 shown]
	s_delay_alu instid0(VALU_DEP_4)
	v_dual_add_f32 v76, v45, v76 :: v_dual_add_f32 v51, v59, v51
	v_dual_add_f32 v54, v54, v63 :: v_dual_mul_f32 v59, 0x3f29c268, v36
	v_dual_mul_f32 v63, 0xbe750f2a, v75 :: v_dual_add_f32 v42, v45, v42
	v_add_f32_e32 v45, v53, v62
	v_mul_f32_e32 v53, 0xbf6f5d39, v75
	v_fma_f32 v57, 0xbf788fa5, v37, -v57
	s_barrier_wait -1
	global_inv scope:SCOPE_SE
	v_add_f32_e32 v79, v14, v20
	v_fma_f32 v56, 0xbeb58ec6, v77, -v53
	v_fmac_f32_e32 v53, 0xbeb58ec6, v77
	v_add_f32_e32 v57, v57, v61
	v_dual_sub_f32 v81, v20, v14 :: v_dual_add_f32 v86, v10, v8
	s_delay_alu instid0(VALU_DEP_4) | instskip(SKIP_3) | instid1(VALU_DEP_3)
	v_add_f32_e32 v56, v56, v64
	v_fma_f32 v64, 0xbf788fa5, v77, -v63
	v_dual_add_f32 v53, v53, v58 :: v_dual_mul_f32 v58, 0x3f29c268, v75
	v_dual_fmac_f32 v63, 0xbf788fa5, v77 :: v_dual_sub_f32 v88, v8, v10
	v_add_f32_e32 v64, v64, v65
	s_delay_alu instid0(VALU_DEP_3) | instskip(SKIP_1) | instid1(VALU_DEP_4)
	v_fma_f32 v65, 0xbf3f9e67, v77, -v58
	v_fmac_f32_e32 v78, 0x3f116cb1, v77
	v_dual_add_f32 v60, v63, v60 :: v_dual_mul_f32 v63, 0x3f7e222b, v75
	s_delay_alu instid0(VALU_DEP_2) | instskip(SKIP_1) | instid1(VALU_DEP_3)
	v_dual_add_f32 v61, v65, v66 :: v_dual_add_f32 v62, v78, v67
	v_fmamk_f32 v65, v37, 0xbf3f9e67, v59
	v_fma_f32 v67, 0x3df6dbef, v77, -v63
	v_fmac_f32_e32 v63, 0x3df6dbef, v77
	v_mul_f32_e32 v66, 0x3f7e222b, v36
	v_fma_f32 v59, 0xbf3f9e67, v37, -v59
	v_dual_add_f32 v65, v65, v70 :: v_dual_fmac_f32 v58, 0xbf3f9e67, v77
	v_add_f32_e32 v67, v67, v72
	v_add_f32_e32 v63, v63, v69
	v_dual_sub_f32 v69, v39, v41 :: v_dual_mul_f32 v36, 0x3eedf032, v36
	s_delay_alu instid0(VALU_DEP_4) | instskip(SKIP_2) | instid1(VALU_DEP_4)
	v_add_f32_e32 v50, v58, v50
	v_fmamk_f32 v58, v37, 0x3df6dbef, v66
	v_fma_f32 v66, 0x3df6dbef, v37, -v66
	v_dual_add_f32 v59, v59, v68 :: v_dual_fmamk_f32 v72, v37, 0x3f62ad3f, v36
	v_fma_f32 v36, 0x3f62ad3f, v37, -v36
	v_add_f32_e32 v39, v41, v39
	s_delay_alu instid0(VALU_DEP_4) | instskip(SKIP_4) | instid1(VALU_DEP_3)
	v_dual_add_f32 v66, v66, v71 :: v_dual_add_f32 v71, v40, v38
	v_add_f32_e32 v58, v58, v73
	v_dual_mul_f32 v73, 0xbf7e222b, v69 :: v_dual_sub_f32 v38, v38, v40
	v_add_f32_e32 v36, v36, v42
	v_mul_f32_e32 v42, 0xbe750f2a, v69
	v_fma_f32 v37, 0x3df6dbef, v71, -v73
	v_mul_f32_e32 v68, 0x3eedf032, v75
	v_mul_f32_e32 v40, 0xbf7e222b, v38
	v_fmac_f32_e32 v73, 0x3df6dbef, v71
	s_delay_alu instid0(VALU_DEP_4) | instskip(NEXT) | instid1(VALU_DEP_4)
	v_add_f32_e32 v37, v37, v45
	v_fma_f32 v70, 0x3f62ad3f, v77, -v68
	v_fmac_f32_e32 v68, 0x3f62ad3f, v77
	v_mul_f32_e32 v45, 0xbe750f2a, v38
	s_delay_alu instid0(VALU_DEP_3) | instskip(NEXT) | instid1(VALU_DEP_3)
	v_dual_sub_f32 v77, v21, v15 :: v_dual_add_f32 v70, v70, v74
	v_add_f32_e32 v41, v68, v44
	v_add_f32_e32 v72, v72, v76
	v_fmamk_f32 v44, v39, 0x3df6dbef, v40
	v_fma_f32 v40, 0x3df6dbef, v39, -v40
	v_fma_f32 v68, 0xbf788fa5, v71, -v42
	s_delay_alu instid0(VALU_DEP_2) | instskip(SKIP_1) | instid1(VALU_DEP_3)
	v_dual_add_f32 v40, v40, v43 :: v_dual_fmamk_f32 v43, v39, 0xbf788fa5, v45
	v_fma_f32 v45, 0xbf788fa5, v39, -v45
	v_add_f32_e32 v56, v68, v56
	s_delay_alu instid0(VALU_DEP_3) | instskip(SKIP_3) | instid1(VALU_DEP_4)
	v_dual_add_f32 v43, v43, v52 :: v_dual_mul_f32 v52, 0x3f6f5d39, v38
	v_add_f32_e32 v44, v44, v54
	v_add_f32_e32 v54, v73, v62
	v_dual_mul_f32 v62, 0x3f6f5d39, v69 :: v_dual_add_f32 v45, v45, v55
	v_fmamk_f32 v55, v39, 0xbeb58ec6, v52
	v_fma_f32 v52, 0xbeb58ec6, v39, -v52
	s_delay_alu instid0(VALU_DEP_3) | instskip(SKIP_1) | instid1(VALU_DEP_4)
	v_fma_f32 v68, 0xbeb58ec6, v71, -v62
	v_fmac_f32_e32 v62, 0xbeb58ec6, v71
	v_add_f32_e32 v51, v55, v51
	s_delay_alu instid0(VALU_DEP_4) | instskip(NEXT) | instid1(VALU_DEP_4)
	v_dual_mul_f32 v55, 0x3eedf032, v38 :: v_dual_add_f32 v52, v52, v57
	v_add_f32_e32 v64, v68, v64
	s_delay_alu instid0(VALU_DEP_4) | instskip(NEXT) | instid1(VALU_DEP_3)
	v_add_f32_e32 v60, v62, v60
	v_fmamk_f32 v62, v39, 0x3f62ad3f, v55
	v_fma_f32 v55, 0x3f62ad3f, v39, -v55
	s_delay_alu instid0(VALU_DEP_1) | instskip(SKIP_1) | instid1(VALU_DEP_1)
	v_add_f32_e32 v55, v55, v59
	v_fmac_f32_e32 v42, 0xbf788fa5, v71
	v_add_f32_e32 v42, v42, v53
	v_mul_f32_e32 v53, 0x3eedf032, v69
	s_delay_alu instid0(VALU_DEP_1) | instskip(SKIP_1) | instid1(VALU_DEP_2)
	v_fma_f32 v68, 0x3f62ad3f, v71, -v53
	v_fmac_f32_e32 v53, 0x3f62ad3f, v71
	v_add_f32_e32 v57, v68, v61
	v_dual_mul_f32 v61, 0xbf52af12, v69 :: v_dual_mul_f32 v68, 0xbf52af12, v38
	v_mul_f32_e32 v38, 0xbf29c268, v38
	s_delay_alu instid0(VALU_DEP_2) | instskip(SKIP_1) | instid1(VALU_DEP_2)
	v_fma_f32 v73, 0x3f116cb1, v71, -v61
	v_fmac_f32_e32 v61, 0x3f116cb1, v71
	v_add_f32_e32 v59, v73, v67
	s_delay_alu instid0(VALU_DEP_2) | instskip(SKIP_4) | instid1(VALU_DEP_4)
	v_add_f32_e32 v61, v61, v63
	v_dual_sub_f32 v63, v29, v35 :: v_dual_add_f32 v62, v62, v65
	v_dual_mul_f32 v65, 0xbf29c268, v69 :: v_dual_add_f32 v50, v53, v50
	v_add_f32_e32 v29, v35, v29
	v_fmamk_f32 v53, v39, 0x3f116cb1, v68
	v_mul_f32_e32 v69, 0xbf6f5d39, v63
	s_delay_alu instid0(VALU_DEP_4) | instskip(SKIP_1) | instid1(VALU_DEP_4)
	v_fma_f32 v67, 0xbf3f9e67, v71, -v65
	v_fmac_f32_e32 v65, 0xbf3f9e67, v71
	v_add_f32_e32 v53, v53, v58
	v_fma_f32 v58, 0x3f116cb1, v39, -v68
	s_delay_alu instid0(VALU_DEP_1)
	v_add_f32_e32 v58, v58, v66
	v_dual_add_f32 v66, v67, v70 :: v_dual_add_f32 v67, v34, v28
	v_sub_f32_e32 v28, v28, v34
	v_fmamk_f32 v68, v39, 0xbf3f9e67, v38
	v_fma_f32 v34, 0xbf3f9e67, v39, -v38
	v_add_f32_e32 v39, v65, v41
	v_fma_f32 v38, 0xbeb58ec6, v67, -v69
	v_mul_f32_e32 v35, 0xbf6f5d39, v28
	v_mul_f32_e32 v41, 0x3f29c268, v28
	v_dual_add_f32 v34, v34, v36 :: v_dual_fmac_f32 v69, 0xbeb58ec6, v67
	s_delay_alu instid0(VALU_DEP_4) | instskip(NEXT) | instid1(VALU_DEP_4)
	v_add_f32_e32 v36, v38, v37
	v_fmamk_f32 v38, v29, 0xbeb58ec6, v35
	v_fma_f32 v35, 0xbeb58ec6, v29, -v35
	v_mul_f32_e32 v37, 0x3f29c268, v63
	s_delay_alu instid0(VALU_DEP_2) | instskip(SKIP_1) | instid1(VALU_DEP_3)
	v_dual_add_f32 v35, v35, v40 :: v_dual_fmamk_f32 v40, v29, 0xbf3f9e67, v41
	v_fma_f32 v41, 0xbf3f9e67, v29, -v41
	v_fma_f32 v65, 0xbf3f9e67, v67, -v37
	v_dual_fmac_f32 v37, 0xbf3f9e67, v67 :: v_dual_add_f32 v68, v68, v72
	s_delay_alu instid0(VALU_DEP_3) | instskip(SKIP_1) | instid1(VALU_DEP_3)
	v_dual_add_f32 v41, v41, v45 :: v_dual_add_f32 v40, v40, v43
	v_mul_f32_e32 v43, 0x3eedf032, v28
	v_dual_add_f32 v37, v37, v42 :: v_dual_mul_f32 v42, 0xbf7e222b, v63
	s_delay_alu instid0(VALU_DEP_2) | instskip(SKIP_1) | instid1(VALU_DEP_1)
	v_fmamk_f32 v45, v29, 0x3f62ad3f, v43
	v_fma_f32 v43, 0x3f62ad3f, v29, -v43
	v_add_f32_e32 v43, v43, v52
	v_add_f32_e32 v38, v38, v44
	;; [unrolled: 1-line block ×4, first 2 shown]
	v_mul_f32_e32 v56, 0x3eedf032, v63
	s_delay_alu instid0(VALU_DEP_1) | instskip(NEXT) | instid1(VALU_DEP_1)
	v_fma_f32 v65, 0x3f62ad3f, v67, -v56
	v_add_f32_e32 v64, v65, v64
	v_fma_f32 v65, 0x3df6dbef, v67, -v42
	s_delay_alu instid0(VALU_DEP_1) | instskip(SKIP_1) | instid1(VALU_DEP_1)
	v_dual_add_f32 v52, v65, v57 :: v_dual_mul_f32 v65, 0x3e750f2a, v28
	v_mul_f32_e32 v57, 0x3e750f2a, v63
	v_fma_f32 v69, 0xbf788fa5, v67, -v57
	v_fmac_f32_e32 v57, 0xbf788fa5, v67
	s_delay_alu instid0(VALU_DEP_1) | instskip(SKIP_3) | instid1(VALU_DEP_4)
	v_dual_add_f32 v57, v57, v61 :: v_dual_fmac_f32 v56, 0x3f62ad3f, v67
	v_add_f32_e32 v45, v45, v51
	v_mul_f32_e32 v51, 0xbf7e222b, v28
	v_dual_mul_f32 v28, 0x3f52af12, v28 :: v_dual_sub_f32 v61, v31, v33
	v_dual_add_f32 v31, v33, v31 :: v_dual_add_f32 v56, v56, v60
	s_delay_alu instid0(VALU_DEP_3) | instskip(SKIP_2) | instid1(VALU_DEP_1)
	v_fmamk_f32 v60, v29, 0x3df6dbef, v51
	v_fmac_f32_e32 v42, 0x3df6dbef, v67
	v_fma_f32 v51, 0x3df6dbef, v29, -v51
	v_dual_add_f32 v42, v42, v50 :: v_dual_add_f32 v51, v51, v55
	v_add_f32_e32 v55, v69, v59
	v_mul_f32_e32 v59, 0x3f52af12, v63
	v_fmamk_f32 v63, v29, 0x3f116cb1, v28
	v_fma_f32 v28, 0x3f116cb1, v29, -v28
	s_delay_alu instid0(VALU_DEP_2) | instskip(NEXT) | instid1(VALU_DEP_4)
	v_dual_add_f32 v63, v63, v68 :: v_dual_add_f32 v60, v60, v62
	v_fma_f32 v62, 0x3f116cb1, v67, -v59
	s_delay_alu instid0(VALU_DEP_3) | instskip(NEXT) | instid1(VALU_DEP_1)
	v_dual_fmac_f32 v59, 0x3f116cb1, v67 :: v_dual_add_f32 v28, v28, v34
	v_dual_fmamk_f32 v50, v29, 0xbf788fa5, v65 :: v_dual_add_f32 v33, v59, v39
	s_delay_alu instid0(VALU_DEP_1) | instskip(SKIP_2) | instid1(VALU_DEP_2)
	v_add_f32_e32 v50, v50, v53
	v_fma_f32 v53, 0xbf788fa5, v29, -v65
	v_mul_f32_e32 v65, 0xbf29c268, v61
	v_add_f32_e32 v53, v53, v58
	v_add_f32_e32 v58, v62, v66
	;; [unrolled: 1-line block ×3, first 2 shown]
	v_sub_f32_e32 v30, v30, v32
	v_mul_f32_e32 v34, 0x3f7e222b, v61
	s_delay_alu instid0(VALU_DEP_3) | instskip(NEXT) | instid1(VALU_DEP_3)
	v_fma_f32 v29, 0xbf3f9e67, v62, -v65
	v_mul_f32_e32 v39, 0x3f7e222b, v30
	s_delay_alu instid0(VALU_DEP_2) | instskip(NEXT) | instid1(VALU_DEP_1)
	v_dual_mul_f32 v32, 0xbf29c268, v30 :: v_dual_add_f32 v29, v29, v36
	v_fmamk_f32 v36, v31, 0xbf3f9e67, v32
	v_fma_f32 v32, 0xbf3f9e67, v31, -v32
	s_delay_alu instid0(VALU_DEP_1)
	v_dual_add_f32 v32, v32, v35 :: v_dual_fmamk_f32 v35, v31, 0x3df6dbef, v39
	v_fmac_f32_e32 v65, 0xbf3f9e67, v62
	v_fma_f32 v59, 0x3df6dbef, v62, -v34
	v_fmac_f32_e32 v34, 0x3df6dbef, v62
	v_fma_f32 v39, 0x3df6dbef, v31, -v39
	v_dual_add_f32 v35, v35, v40 :: v_dual_mul_f32 v40, 0xbf52af12, v30
	s_delay_alu instid0(VALU_DEP_3) | instskip(NEXT) | instid1(VALU_DEP_3)
	v_add_f32_e32 v34, v34, v37
	v_add_f32_e32 v37, v39, v41
	v_mul_f32_e32 v39, 0x3e750f2a, v61
	s_delay_alu instid0(VALU_DEP_4) | instskip(SKIP_1) | instid1(VALU_DEP_2)
	v_fmamk_f32 v41, v31, 0x3f116cb1, v40
	v_fma_f32 v40, 0x3f116cb1, v31, -v40
	v_dual_add_f32 v41, v41, v45 :: v_dual_add_f32 v36, v36, v38
	v_dual_add_f32 v38, v65, v44 :: v_dual_mul_f32 v45, 0x3e750f2a, v30
	v_add_f32_e32 v44, v59, v54
	v_mul_f32_e32 v54, 0xbf52af12, v61
	v_add_f32_e32 v40, v40, v43
	s_delay_alu instid0(VALU_DEP_2) | instskip(NEXT) | instid1(VALU_DEP_1)
	v_fma_f32 v59, 0x3f116cb1, v62, -v54
	v_add_f32_e32 v59, v59, v64
	v_fma_f32 v64, 0xbf788fa5, v62, -v39
	v_fmac_f32_e32 v39, 0xbf788fa5, v62
	s_delay_alu instid0(VALU_DEP_2) | instskip(NEXT) | instid1(VALU_DEP_2)
	v_add_f32_e32 v43, v64, v52
	v_dual_add_f32 v39, v39, v42 :: v_dual_mul_f32 v52, 0x3eedf032, v61
	v_mul_f32_e32 v64, 0x3eedf032, v30
	v_mul_f32_e32 v30, 0xbf6f5d39, v30
	s_delay_alu instid0(VALU_DEP_3) | instskip(SKIP_1) | instid1(VALU_DEP_2)
	v_fma_f32 v65, 0x3f62ad3f, v62, -v52
	v_fmac_f32_e32 v52, 0x3f62ad3f, v62
	v_dual_fmac_f32 v54, 0x3f116cb1, v62 :: v_dual_add_f32 v55, v65, v55
	s_delay_alu instid0(VALU_DEP_1) | instskip(SKIP_3) | instid1(VALU_DEP_3)
	v_dual_add_f32 v57, v52, v57 :: v_dual_add_f32 v54, v54, v56
	v_dual_fmamk_f32 v52, v31, 0xbeb58ec6, v30 :: v_dual_sub_f32 v65, v24, v26
	v_fmamk_f32 v56, v31, 0xbf788fa5, v45
	v_fma_f32 v45, 0xbf788fa5, v31, -v45
	v_add_f32_e32 v63, v52, v63
	s_delay_alu instid0(VALU_DEP_2) | instskip(SKIP_2) | instid1(VALU_DEP_2)
	v_dual_add_f32 v56, v56, v60 :: v_dual_add_f32 v45, v45, v51
	v_mul_f32_e32 v51, 0xbf6f5d39, v61
	v_sub_f32_e32 v61, v25, v27
	v_fma_f32 v60, 0xbeb58ec6, v62, -v51
	v_dual_fmac_f32 v51, 0xbeb58ec6, v62 :: v_dual_add_f32 v62, v27, v25
	s_delay_alu instid0(VALU_DEP_2) | instskip(SKIP_2) | instid1(VALU_DEP_4)
	v_dual_mul_f32 v25, 0xbe750f2a, v65 :: v_dual_add_f32 v58, v60, v58
	v_add_f32_e32 v60, v26, v24
	v_fma_f32 v24, 0xbeb58ec6, v31, -v30
	v_add_f32_e32 v66, v51, v33
	v_mul_f32_e32 v33, 0xbf29c268, v65
	s_delay_alu instid0(VALU_DEP_3) | instskip(SKIP_3) | instid1(VALU_DEP_4)
	v_dual_add_f32 v67, v24, v28 :: v_dual_mul_f32 v28, 0x3eedf032, v61
	v_fmamk_f32 v24, v62, 0xbf788fa5, v25
	v_fmamk_f32 v42, v31, 0x3f62ad3f, v64
	v_fma_f32 v25, 0xbf788fa5, v62, -v25
	v_fma_f32 v30, 0x3f62ad3f, v60, -v28
	s_delay_alu instid0(VALU_DEP_3) | instskip(SKIP_2) | instid1(VALU_DEP_4)
	v_dual_add_f32 v27, v24, v36 :: v_dual_add_f32 v42, v42, v50
	v_fma_f32 v50, 0x3f62ad3f, v31, -v64
	v_fmac_f32_e32 v28, 0x3f62ad3f, v60
	v_add_f32_e32 v30, v30, v44
	v_dual_add_f32 v25, v25, v32 :: v_dual_mul_f32 v32, 0xbf29c268, v61
	v_mul_f32_e32 v36, 0x3f52af12, v61
	s_delay_alu instid0(VALU_DEP_4) | instskip(SKIP_4) | instid1(VALU_DEP_4)
	v_add_f32_e32 v28, v28, v34
	v_fmamk_f32 v34, v62, 0xbf3f9e67, v33
	v_fma_f32 v33, 0xbf3f9e67, v62, -v33
	v_add_f32_e32 v64, v50, v53
	v_mul_f32_e32 v50, 0xbe750f2a, v61
	v_add_f32_e32 v51, v34, v41
	s_delay_alu instid0(VALU_DEP_4) | instskip(NEXT) | instid1(VALU_DEP_3)
	v_dual_add_f32 v33, v33, v40 :: v_dual_mul_f32 v40, 0xbf6f5d39, v65
	v_fma_f32 v26, 0xbf788fa5, v60, -v50
	v_fmac_f32_e32 v50, 0xbf788fa5, v60
	s_delay_alu instid0(VALU_DEP_2) | instskip(NEXT) | instid1(VALU_DEP_2)
	v_add_f32_e32 v26, v26, v29
	v_dual_mul_f32 v29, 0x3eedf032, v65 :: v_dual_add_f32 v24, v50, v38
	v_mul_f32_e32 v38, 0xbf6f5d39, v61
	s_delay_alu instid0(VALU_DEP_2) | instskip(NEXT) | instid1(VALU_DEP_2)
	v_fmamk_f32 v31, v62, 0x3f62ad3f, v29
	v_fma_f32 v41, 0xbeb58ec6, v60, -v38
	s_delay_alu instid0(VALU_DEP_2) | instskip(SKIP_1) | instid1(VALU_DEP_3)
	v_dual_fmac_f32 v38, 0xbeb58ec6, v60 :: v_dual_add_f32 v31, v31, v35
	v_fma_f32 v35, 0xbf3f9e67, v60, -v32
	v_add_f32_e32 v52, v41, v55
	s_delay_alu instid0(VALU_DEP_2) | instskip(SKIP_2) | instid1(VALU_DEP_1)
	v_add_f32_e32 v50, v35, v59
	v_fma_f32 v35, 0x3f116cb1, v60, -v36
	v_fmac_f32_e32 v36, 0x3f116cb1, v60
	v_add_f32_e32 v44, v36, v39
	v_fmamk_f32 v36, v62, 0xbeb58ec6, v40
	s_delay_alu instid0(VALU_DEP_1) | instskip(SKIP_4) | instid1(VALU_DEP_4)
	v_add_f32_e32 v53, v36, v42
	v_fma_f32 v29, 0x3f62ad3f, v62, -v29
	v_mul_f32_e32 v36, 0x3f7e222b, v65
	v_add_f32_e32 v34, v35, v43
	v_add_f32_e32 v43, v49, v3
	;; [unrolled: 1-line block ×3, first 2 shown]
	s_delay_alu instid0(VALU_DEP_4) | instskip(SKIP_3) | instid1(VALU_DEP_3)
	v_fmamk_f32 v41, v62, 0x3df6dbef, v36
	v_mul_f32_e32 v37, 0x3f52af12, v65
	v_fma_f32 v36, 0x3df6dbef, v62, -v36
	v_fmac_f32_e32 v32, 0xbf3f9e67, v60
	v_fmamk_f32 v35, v62, 0x3f116cb1, v37
	s_delay_alu instid0(VALU_DEP_3) | instskip(SKIP_1) | instid1(VALU_DEP_3)
	v_add_f32_e32 v59, v36, v67
	v_fma_f32 v37, 0x3f116cb1, v62, -v37
	v_add_f32_e32 v35, v35, v56
	s_delay_alu instid0(VALU_DEP_2) | instskip(SKIP_4) | instid1(VALU_DEP_2)
	v_add_f32_e32 v45, v37, v45
	v_dual_mul_f32 v37, 0x3f7e222b, v61 :: v_dual_add_f32 v32, v32, v54
	v_add_f32_e32 v54, v38, v57
	v_dual_sub_f32 v38, v3, v49 :: v_dual_add_f32 v57, v41, v63
	v_sub_f32_e32 v41, v2, v48
	v_mul_f32_e32 v67, 0xbf6f5d39, v38
	v_fma_f32 v39, 0xbeb58ec6, v62, -v40
	v_fma_f32 v40, 0x3df6dbef, v60, -v37
	s_delay_alu instid0(VALU_DEP_4) | instskip(SKIP_2) | instid1(VALU_DEP_4)
	v_mul_f32_e32 v65, 0xbf7e222b, v41
	v_fmac_f32_e32 v37, 0x3df6dbef, v60
	v_mul_f32_e32 v61, 0xbf52af12, v41
	v_dual_add_f32 v55, v39, v64 :: v_dual_add_f32 v56, v40, v58
	s_delay_alu instid0(VALU_DEP_4) | instskip(SKIP_2) | instid1(VALU_DEP_3)
	v_dual_add_f32 v39, v48, v2 :: v_dual_fmamk_f32 v68, v43, 0x3df6dbef, v65
	v_fma_f32 v65, 0x3df6dbef, v43, -v65
	v_dual_add_f32 v58, v37, v66 :: v_dual_mul_f32 v73, 0xbf29c268, v41
	v_fma_f32 v69, 0xbeb58ec6, v39, -v67
	v_fmac_f32_e32 v67, 0xbeb58ec6, v39
	s_delay_alu instid0(VALU_DEP_4) | instskip(SKIP_2) | instid1(VALU_DEP_4)
	v_dual_mul_f32 v40, 0xbeedf032, v38 :: v_dual_add_f32 v65, v65, v1
	v_mul_f32_e32 v60, 0xbeedf032, v41
	v_mul_f32_e32 v37, 0xbf52af12, v38
	v_add_f32_e32 v67, v67, v0
	s_delay_alu instid0(VALU_DEP_4) | instskip(SKIP_3) | instid1(VALU_DEP_4)
	v_fma_f32 v42, 0x3f62ad3f, v39, -v40
	v_fmamk_f32 v63, v43, 0x3f116cb1, v61
	v_fmamk_f32 v75, v43, 0xbf3f9e67, v73
	v_fma_f32 v62, 0x3f116cb1, v39, -v37
	v_dual_fmac_f32 v37, 0x3f116cb1, v39 :: v_dual_add_f32 v36, v42, v0
	v_mul_f32_e32 v71, 0xbf29c268, v38
	v_fmamk_f32 v42, v43, 0x3f62ad3f, v60
	v_fma_f32 v73, 0xbf3f9e67, v43, -v73
	v_mul_f32_e32 v64, 0xbf7e222b, v38
	v_dual_fmac_f32 v40, 0x3f62ad3f, v39 :: v_dual_add_f32 v75, v75, v1
	s_delay_alu instid0(VALU_DEP_4)
	v_add_f32_e32 v42, v42, v1
	v_dual_add_f32 v62, v62, v0 :: v_dual_add_f32 v63, v63, v1
	v_dual_add_f32 v37, v37, v0 :: v_dual_mul_f32 v70, 0xbf6f5d39, v41
	v_dual_mul_f32 v38, 0xbe750f2a, v38 :: v_dual_mul_f32 v41, 0xbe750f2a, v41
	v_add_f32_e32 v73, v73, v1
	v_fma_f32 v66, 0x3df6dbef, v39, -v64
	v_mul_f32_e32 v80, 0xbf52af12, v77
	v_fma_f32 v60, 0x3f62ad3f, v43, -v60
	v_add_f32_e32 v40, v40, v0
	v_fmac_f32_e32 v64, 0x3df6dbef, v39
	v_add_f32_e32 v66, v66, v0
	v_add_f32_e32 v69, v69, v0
	v_fma_f32 v74, 0xbf3f9e67, v39, -v71
	v_fmac_f32_e32 v71, 0xbf3f9e67, v39
	v_fma_f32 v76, 0xbf788fa5, v39, -v38
	v_fmamk_f32 v78, v43, 0xbf788fa5, v41
	v_fmac_f32_e32 v38, 0xbf788fa5, v39
	v_fma_f32 v39, 0xbf788fa5, v43, -v41
	v_fma_f32 v41, 0x3f116cb1, v79, -v80
	v_dual_add_f32 v60, v60, v1 :: v_dual_add_f32 v71, v71, v0
	v_fma_f32 v61, 0x3f116cb1, v43, -v61
	v_add_f32_e32 v74, v74, v0
	v_mul_f32_e32 v82, 0xbf52af12, v81
	v_dual_add_f32 v36, v41, v36 :: v_dual_mul_f32 v41, 0xbf6f5d39, v77
	v_fmamk_f32 v72, v43, 0xbeb58ec6, v70
	v_fma_f32 v70, 0xbeb58ec6, v43, -v70
	v_dual_add_f32 v43, v15, v21 :: v_dual_fmac_f32 v80, 0x3f116cb1, v79
	v_mul_f32_e32 v84, 0xbf6f5d39, v81
	v_add_f32_e32 v68, v68, v1
	v_add_f32_e32 v61, v61, v1
	s_delay_alu instid0(VALU_DEP_4)
	v_fmamk_f32 v83, v43, 0x3f116cb1, v82
	v_fma_f32 v82, 0x3f116cb1, v43, -v82
	v_add_f32_e32 v40, v80, v40
	v_fmamk_f32 v80, v43, 0xbeb58ec6, v84
	v_dual_add_f32 v64, v64, v0 :: v_dual_add_f32 v39, v39, v1
	v_fma_f32 v85, 0xbeb58ec6, v79, -v41
	v_add_f32_e32 v42, v83, v42
	v_add_f32_e32 v60, v82, v60
	v_mul_f32_e32 v82, 0xbe750f2a, v77
	v_fmac_f32_e32 v41, 0xbeb58ec6, v79
	v_fma_f32 v83, 0xbeb58ec6, v43, -v84
	v_dual_add_f32 v63, v80, v63 :: v_dual_mul_f32 v80, 0xbe750f2a, v81
	v_add_f32_e32 v72, v72, v1
	v_add_f32_e32 v76, v76, v0
	v_fma_f32 v84, 0xbf788fa5, v79, -v82
	v_add_f32_e32 v37, v41, v37
	v_add_f32_e32 v41, v83, v61
	v_mul_f32_e32 v61, 0x3f29c268, v77
	v_fmamk_f32 v83, v43, 0xbf788fa5, v80
	v_fma_f32 v80, 0xbf788fa5, v43, -v80
	v_add_f32_e32 v70, v70, v1
	v_add_f32_e32 v62, v85, v62
	s_delay_alu instid0(VALU_DEP_3)
	v_dual_add_f32 v68, v83, v68 :: v_dual_add_f32 v65, v80, v65
	v_mul_f32_e32 v80, 0x3f7e222b, v77
	v_dual_mul_f32 v77, 0x3eedf032, v77 :: v_dual_add_f32 v66, v84, v66
	v_fma_f32 v84, 0xbf3f9e67, v79, -v61
	v_fmac_f32_e32 v61, 0xbf3f9e67, v79
	v_mul_f32_e32 v83, 0x3f29c268, v81
	v_fma_f32 v85, 0x3df6dbef, v79, -v80
	s_delay_alu instid0(VALU_DEP_4) | instskip(SKIP_2) | instid1(VALU_DEP_3)
	v_dual_fmac_f32 v80, 0x3df6dbef, v79 :: v_dual_add_f32 v69, v84, v69
	v_mul_f32_e32 v84, 0x3f7e222b, v81
	v_dual_add_f32 v78, v78, v1 :: v_dual_add_f32 v61, v61, v67
	v_dual_add_f32 v38, v38, v0 :: v_dual_add_f32 v71, v80, v71
	s_delay_alu instid0(VALU_DEP_3) | instskip(SKIP_1) | instid1(VALU_DEP_2)
	v_fmamk_f32 v67, v43, 0x3df6dbef, v84
	v_sub_f32_e32 v80, v23, v13
	v_dual_add_f32 v74, v85, v74 :: v_dual_add_f32 v67, v67, v75
	v_mul_f32_e32 v75, 0x3eedf032, v81
	v_fma_f32 v81, 0x3df6dbef, v43, -v84
	s_delay_alu instid0(VALU_DEP_1) | instskip(SKIP_1) | instid1(VALU_DEP_1)
	v_add_f32_e32 v73, v81, v73
	v_dual_add_f32 v81, v12, v22 :: v_dual_fmac_f32 v82, 0xbf788fa5, v79
	v_add_f32_e32 v64, v82, v64
	v_fmamk_f32 v82, v43, 0xbf3f9e67, v83
	v_fma_f32 v83, 0xbf3f9e67, v43, -v83
	s_delay_alu instid0(VALU_DEP_2) | instskip(NEXT) | instid1(VALU_DEP_2)
	v_add_f32_e32 v72, v82, v72
	v_add_f32_e32 v70, v83, v70
	v_fmamk_f32 v83, v43, 0x3f62ad3f, v75
	v_fma_f32 v82, 0x3f62ad3f, v79, -v77
	v_fmac_f32_e32 v77, 0x3f62ad3f, v79
	v_add_f32_e32 v79, v13, v23
	v_fma_f32 v43, 0x3f62ad3f, v43, -v75
	v_dual_add_f32 v78, v83, v78 :: v_dual_sub_f32 v83, v22, v12
	s_delay_alu instid0(VALU_DEP_2) | instskip(SKIP_1) | instid1(VALU_DEP_3)
	v_dual_add_f32 v38, v77, v38 :: v_dual_add_f32 v39, v43, v39
	v_mul_f32_e32 v43, 0xbe750f2a, v80
	v_mul_f32_e32 v84, 0xbf7e222b, v83
	s_delay_alu instid0(VALU_DEP_2) | instskip(NEXT) | instid1(VALU_DEP_2)
	v_fma_f32 v85, 0xbf788fa5, v81, -v43
	v_fma_f32 v77, 0x3df6dbef, v79, -v84
	s_delay_alu instid0(VALU_DEP_1) | instskip(SKIP_2) | instid1(VALU_DEP_3)
	v_dual_fmac_f32 v43, 0xbf788fa5, v81 :: v_dual_add_f32 v60, v77, v60
	v_mul_f32_e32 v77, 0x3f6f5d39, v80
	v_add_f32_e32 v76, v82, v76
	v_dual_mul_f32 v82, 0xbf7e222b, v80 :: v_dual_add_f32 v37, v43, v37
	v_mul_f32_e32 v43, 0x3eedf032, v80
	s_delay_alu instid0(VALU_DEP_2) | instskip(SKIP_1) | instid1(VALU_DEP_2)
	v_fma_f32 v75, 0x3df6dbef, v81, -v82
	v_fmac_f32_e32 v82, 0x3df6dbef, v81
	v_add_f32_e32 v36, v75, v36
	v_fmamk_f32 v75, v79, 0x3df6dbef, v84
	v_mul_f32_e32 v84, 0xbe750f2a, v83
	s_delay_alu instid0(VALU_DEP_4) | instskip(NEXT) | instid1(VALU_DEP_3)
	v_add_f32_e32 v40, v82, v40
	v_add_f32_e32 v42, v75, v42
	s_delay_alu instid0(VALU_DEP_3) | instskip(SKIP_3) | instid1(VALU_DEP_4)
	v_fmamk_f32 v75, v79, 0xbf788fa5, v84
	v_fma_f32 v82, 0xbf788fa5, v79, -v84
	v_fma_f32 v84, 0xbeb58ec6, v81, -v77
	v_fmac_f32_e32 v77, 0xbeb58ec6, v81
	v_add_f32_e32 v63, v75, v63
	s_delay_alu instid0(VALU_DEP_3) | instskip(SKIP_2) | instid1(VALU_DEP_3)
	v_dual_mul_f32 v75, 0x3f6f5d39, v83 :: v_dual_add_f32 v66, v84, v66
	v_fma_f32 v84, 0x3f62ad3f, v81, -v43
	v_fmac_f32_e32 v43, 0x3f62ad3f, v81
	v_dual_add_f32 v41, v82, v41 :: v_dual_fmamk_f32 v82, v79, 0xbeb58ec6, v75
	v_fma_f32 v75, 0xbeb58ec6, v79, -v75
	s_delay_alu instid0(VALU_DEP_4) | instskip(NEXT) | instid1(VALU_DEP_4)
	v_dual_add_f32 v69, v84, v69 :: v_dual_mul_f32 v84, 0xbf52af12, v83
	v_dual_add_f32 v43, v43, v61 :: v_dual_add_f32 v64, v77, v64
	s_delay_alu instid0(VALU_DEP_3) | instskip(NEXT) | instid1(VALU_DEP_3)
	v_add_f32_e32 v65, v75, v65
	v_fmamk_f32 v61, v79, 0x3f116cb1, v84
	s_delay_alu instid0(VALU_DEP_1) | instskip(SKIP_2) | instid1(VALU_DEP_1)
	v_add_f32_e32 v61, v61, v67
	v_mul_f32_e32 v67, 0xbf29c268, v83
	v_dual_mul_f32 v75, 0xbf52af12, v80 :: v_dual_add_f32 v62, v85, v62
	v_fma_f32 v85, 0x3f116cb1, v81, -v75
	v_fmac_f32_e32 v75, 0x3f116cb1, v81
	s_delay_alu instid0(VALU_DEP_1)
	v_add_f32_e32 v71, v75, v71
	v_dual_sub_f32 v75, v17, v7 :: v_dual_add_f32 v68, v82, v68
	v_mul_f32_e32 v82, 0x3eedf032, v83
	v_fmamk_f32 v83, v79, 0xbf3f9e67, v67
	v_fma_f32 v67, 0xbf3f9e67, v79, -v67
	v_add_f32_e32 v74, v85, v74
	s_delay_alu instid0(VALU_DEP_3) | instskip(SKIP_4) | instid1(VALU_DEP_3)
	v_add_f32_e32 v78, v83, v78
	v_sub_f32_e32 v83, v16, v6
	v_fmamk_f32 v77, v79, 0x3f62ad3f, v82
	v_fma_f32 v82, 0x3f62ad3f, v79, -v82
	v_add_f32_e32 v39, v67, v39
	v_dual_mul_f32 v67, 0x3f29c268, v75 :: v_dual_add_f32 v72, v77, v72
	s_delay_alu instid0(VALU_DEP_3) | instskip(NEXT) | instid1(VALU_DEP_1)
	v_dual_mul_f32 v77, 0xbf29c268, v80 :: v_dual_add_f32 v70, v82, v70
	v_fma_f32 v82, 0xbf3f9e67, v81, -v77
	v_fmac_f32_e32 v77, 0xbf3f9e67, v81
	v_add_f32_e32 v81, v7, v17
	v_fma_f32 v80, 0x3f116cb1, v79, -v84
	v_mul_f32_e32 v84, 0xbf6f5d39, v83
	v_add_f32_e32 v76, v82, v76
	v_mul_f32_e32 v82, 0xbf6f5d39, v75
	s_delay_alu instid0(VALU_DEP_4) | instskip(NEXT) | instid1(VALU_DEP_4)
	v_dual_add_f32 v38, v77, v38 :: v_dual_add_f32 v73, v80, v73
	v_dual_add_f32 v80, v6, v16 :: v_dual_fmamk_f32 v77, v81, 0xbeb58ec6, v84
	s_delay_alu instid0(VALU_DEP_1) | instskip(NEXT) | instid1(VALU_DEP_2)
	v_fma_f32 v79, 0xbeb58ec6, v80, -v82
	v_add_f32_e32 v42, v77, v42
	s_delay_alu instid0(VALU_DEP_2) | instskip(SKIP_2) | instid1(VALU_DEP_1)
	v_add_f32_e32 v36, v79, v36
	v_fma_f32 v79, 0xbeb58ec6, v81, -v84
	v_mul_f32_e32 v84, 0x3f29c268, v83
	v_dual_add_f32 v60, v79, v60 :: v_dual_fmamk_f32 v77, v81, 0xbf3f9e67, v84
	v_fma_f32 v85, 0xbf3f9e67, v80, -v67
	v_fmac_f32_e32 v67, 0xbf3f9e67, v80
	v_mul_f32_e32 v79, 0x3eedf032, v75
	s_delay_alu instid0(VALU_DEP_4) | instskip(SKIP_1) | instid1(VALU_DEP_4)
	v_add_f32_e32 v63, v77, v63
	v_mul_f32_e32 v77, 0x3eedf032, v83
	v_dual_add_f32 v37, v67, v37 :: v_dual_fmac_f32 v82, 0xbeb58ec6, v80
	v_dual_mul_f32 v67, 0xbf7e222b, v75 :: v_dual_add_f32 v62, v85, v62
	s_delay_alu instid0(VALU_DEP_2) | instskip(SKIP_3) | instid1(VALU_DEP_2)
	v_add_f32_e32 v40, v82, v40
	v_fma_f32 v82, 0xbf3f9e67, v81, -v84
	v_fma_f32 v84, 0x3f62ad3f, v80, -v79
	v_fmac_f32_e32 v79, 0x3f62ad3f, v80
	v_dual_add_f32 v41, v82, v41 :: v_dual_add_f32 v66, v84, v66
	v_fma_f32 v84, 0x3df6dbef, v80, -v67
	v_fmac_f32_e32 v67, 0x3df6dbef, v80
	v_fmamk_f32 v82, v81, 0x3f62ad3f, v77
	v_fma_f32 v77, 0x3f62ad3f, v81, -v77
	s_delay_alu instid0(VALU_DEP_4) | instskip(SKIP_2) | instid1(VALU_DEP_4)
	v_dual_add_f32 v64, v79, v64 :: v_dual_add_f32 v69, v84, v69
	v_mul_f32_e32 v84, 0x3e750f2a, v83
	v_add_f32_e32 v43, v67, v43
	v_add_f32_e32 v65, v77, v65
	v_dual_mul_f32 v77, 0x3e750f2a, v75 :: v_dual_add_f32 v68, v82, v68
	v_mul_f32_e32 v82, 0xbf7e222b, v83
	v_mul_f32_e32 v75, 0x3f52af12, v75
	s_delay_alu instid0(VALU_DEP_3) | instskip(NEXT) | instid1(VALU_DEP_1)
	v_fma_f32 v85, 0xbf788fa5, v80, -v77
	v_dual_fmac_f32 v77, 0xbf788fa5, v80 :: v_dual_add_f32 v74, v85, v74
	s_delay_alu instid0(VALU_DEP_1) | instskip(SKIP_3) | instid1(VALU_DEP_2)
	v_add_f32_e32 v71, v77, v71
	v_sub_f32_e32 v77, v19, v5
	v_fmamk_f32 v79, v81, 0x3df6dbef, v82
	v_fma_f32 v82, 0x3df6dbef, v81, -v82
	v_add_f32_e32 v72, v79, v72
	v_fma_f32 v79, 0xbf788fa5, v81, -v84
	s_delay_alu instid0(VALU_DEP_3) | instskip(SKIP_2) | instid1(VALU_DEP_4)
	v_add_f32_e32 v70, v82, v70
	v_fma_f32 v82, 0x3f116cb1, v80, -v75
	v_fmac_f32_e32 v75, 0x3f116cb1, v80
	v_add_f32_e32 v73, v79, v73
	s_delay_alu instid0(VALU_DEP_3) | instskip(SKIP_1) | instid1(VALU_DEP_2)
	v_dual_fmamk_f32 v67, v81, 0xbf788fa5, v84 :: v_dual_add_f32 v76, v82, v76
	v_dual_add_f32 v79, v4, v18 :: v_dual_mul_f32 v82, 0xbf29c268, v77
	v_add_f32_e32 v61, v67, v61
	v_mul_f32_e32 v67, 0x3f52af12, v83
	s_delay_alu instid0(VALU_DEP_3) | instskip(SKIP_1) | instid1(VALU_DEP_3)
	v_fma_f32 v80, 0xbf3f9e67, v79, -v82
	v_fmac_f32_e32 v82, 0xbf3f9e67, v79
	v_fmamk_f32 v83, v81, 0x3f116cb1, v67
	v_fma_f32 v67, 0x3f116cb1, v81, -v67
	s_delay_alu instid0(VALU_DEP_4) | instskip(NEXT) | instid1(VALU_DEP_2)
	v_dual_add_f32 v81, v5, v19 :: v_dual_add_f32 v36, v80, v36
	v_dual_add_f32 v40, v82, v40 :: v_dual_add_f32 v39, v67, v39
	v_mul_f32_e32 v67, 0x3f7e222b, v77
	s_delay_alu instid0(VALU_DEP_1) | instskip(NEXT) | instid1(VALU_DEP_1)
	v_fma_f32 v85, 0x3df6dbef, v79, -v67
	v_dual_fmac_f32 v67, 0x3df6dbef, v79 :: v_dual_add_f32 v62, v85, v62
	v_add_f32_e32 v38, v75, v38
	v_dual_add_f32 v78, v83, v78 :: v_dual_sub_f32 v83, v18, v4
	s_delay_alu instid0(VALU_DEP_3) | instskip(SKIP_1) | instid1(VALU_DEP_3)
	v_add_f32_e32 v37, v67, v37
	v_mul_f32_e32 v67, 0x3e750f2a, v77
	v_mul_f32_e32 v84, 0xbf29c268, v83
	s_delay_alu instid0(VALU_DEP_1) | instskip(SKIP_2) | instid1(VALU_DEP_3)
	v_fma_f32 v80, 0xbf3f9e67, v81, -v84
	v_fmamk_f32 v75, v81, 0xbf3f9e67, v84
	v_mul_f32_e32 v84, 0x3f7e222b, v83
	v_add_f32_e32 v60, v80, v60
	s_delay_alu instid0(VALU_DEP_2) | instskip(SKIP_2) | instid1(VALU_DEP_3)
	v_dual_add_f32 v42, v75, v42 :: v_dual_fmamk_f32 v75, v81, 0x3df6dbef, v84
	v_mul_f32_e32 v80, 0xbf52af12, v77
	v_fma_f32 v82, 0x3df6dbef, v81, -v84
	v_add_f32_e32 v63, v75, v63
	v_mul_f32_e32 v75, 0xbf52af12, v83
	s_delay_alu instid0(VALU_DEP_4) | instskip(NEXT) | instid1(VALU_DEP_2)
	v_fma_f32 v84, 0x3f116cb1, v79, -v80
	v_dual_add_f32 v41, v82, v41 :: v_dual_fmamk_f32 v82, v81, 0x3f116cb1, v75
	s_delay_alu instid0(VALU_DEP_2) | instskip(NEXT) | instid1(VALU_DEP_2)
	v_add_f32_e32 v66, v84, v66
	v_add_f32_e32 v68, v82, v68
	v_fma_f32 v75, 0x3f116cb1, v81, -v75
	v_mul_f32_e32 v82, 0x3e750f2a, v83
	v_fma_f32 v84, 0xbf788fa5, v79, -v67
	v_fmac_f32_e32 v80, 0x3f116cb1, v79
	v_fmac_f32_e32 v67, 0xbf788fa5, v79
	v_add_f32_e32 v65, v75, v65
	v_mul_f32_e32 v75, 0x3eedf032, v77
	v_add_f32_e32 v69, v84, v69
	v_add_f32_e32 v64, v80, v64
	v_fmamk_f32 v80, v81, 0xbf788fa5, v82
	v_mul_f32_e32 v84, 0x3eedf032, v83
	v_fma_f32 v82, 0xbf788fa5, v81, -v82
	v_fma_f32 v85, 0x3f62ad3f, v79, -v75
	s_delay_alu instid0(VALU_DEP_4) | instskip(NEXT) | instid1(VALU_DEP_3)
	v_dual_add_f32 v43, v67, v43 :: v_dual_add_f32 v80, v80, v72
	v_dual_fmamk_f32 v67, v81, 0x3f62ad3f, v84 :: v_dual_add_f32 v70, v82, v70
	v_mul_f32_e32 v72, 0xbf6f5d39, v77
	s_delay_alu instid0(VALU_DEP_4) | instskip(NEXT) | instid1(VALU_DEP_3)
	v_dual_add_f32 v82, v85, v74 :: v_dual_fmac_f32 v75, 0x3f62ad3f, v79
	v_add_f32_e32 v61, v67, v61
	v_mul_f32_e32 v67, 0xbf6f5d39, v83
	v_fma_f32 v74, 0x3f62ad3f, v81, -v84
	v_fma_f32 v77, 0xbeb58ec6, v79, -v72
	v_sub_f32_e32 v83, v9, v11
	v_add_f32_e32 v71, v75, v71
	s_delay_alu instid0(VALU_DEP_4) | instskip(NEXT) | instid1(VALU_DEP_3)
	v_dual_fmamk_f32 v75, v81, 0xbeb58ec6, v67 :: v_dual_add_f32 v84, v74, v73
	v_dual_add_f32 v85, v77, v76 :: v_dual_mul_f32 v74, 0xbe750f2a, v83
	s_delay_alu instid0(VALU_DEP_2) | instskip(SKIP_2) | instid1(VALU_DEP_4)
	v_dual_fmac_f32 v72, 0xbeb58ec6, v79 :: v_dual_add_f32 v87, v75, v78
	v_fma_f32 v67, 0xbeb58ec6, v81, -v67
	v_add_f32_e32 v89, v11, v9
	v_fma_f32 v73, 0xbf788fa5, v86, -v74
	s_delay_alu instid0(VALU_DEP_4) | instskip(NEXT) | instid1(VALU_DEP_4)
	v_add_f32_e32 v90, v72, v38
	v_dual_fmac_f32 v74, 0xbf788fa5, v86 :: v_dual_add_f32 v67, v67, v39
	s_delay_alu instid0(VALU_DEP_3) | instskip(NEXT) | instid1(VALU_DEP_2)
	v_add_f32_e32 v72, v73, v36
	v_dual_mul_f32 v36, 0x3eedf032, v83 :: v_dual_add_f32 v149, v74, v40
	v_mul_f32_e32 v40, 0xbf29c268, v83
	s_delay_alu instid0(VALU_DEP_2) | instskip(NEXT) | instid1(VALU_DEP_1)
	v_fma_f32 v76, 0x3f62ad3f, v86, -v36
	v_dual_mul_f32 v75, 0xbe750f2a, v88 :: v_dual_add_f32 v74, v76, v62
	s_delay_alu instid0(VALU_DEP_1) | instskip(SKIP_4) | instid1(VALU_DEP_4)
	v_fmamk_f32 v38, v89, 0xbf788fa5, v75
	v_fma_f32 v39, 0xbf788fa5, v89, -v75
	v_mul_f32_e32 v75, 0x3eedf032, v88
	v_fmac_f32_e32 v36, 0x3f62ad3f, v86
	v_mul_f32_e32 v62, 0xbf6f5d39, v88
	v_add_f32_e32 v150, v39, v60
	s_delay_alu instid0(VALU_DEP_4) | instskip(SKIP_1) | instid1(VALU_DEP_2)
	v_fma_f32 v39, 0x3f62ad3f, v89, -v75
	v_fma_f32 v60, 0xbf3f9e67, v86, -v40
	v_add_f32_e32 v39, v39, v41
	v_mul_f32_e32 v41, 0x3f52af12, v83
	v_dual_add_f32 v73, v38, v42 :: v_dual_fmamk_f32 v38, v89, 0x3f62ad3f, v75
	v_mul_f32_e32 v42, 0xbf29c268, v88
	v_add_f32_e32 v76, v60, v66
	s_delay_alu instid0(VALU_DEP_3) | instskip(SKIP_1) | instid1(VALU_DEP_4)
	v_dual_mul_f32 v60, 0x3f52af12, v88 :: v_dual_add_f32 v75, v38, v63
	v_add_f32_e32 v38, v36, v37
	v_fmamk_f32 v36, v89, 0xbf3f9e67, v42
	v_fma_f32 v37, 0xbf3f9e67, v89, -v42
	v_fma_f32 v42, 0x3f116cb1, v86, -v41
	v_fmac_f32_e32 v41, 0x3f116cb1, v86
	s_delay_alu instid0(VALU_DEP_3) | instskip(NEXT) | instid1(VALU_DEP_3)
	v_add_f32_e32 v37, v37, v65
	v_add_f32_e32 v78, v42, v69
	v_fmamk_f32 v42, v89, 0x3f116cb1, v60
	s_delay_alu instid0(VALU_DEP_1) | instskip(SKIP_2) | instid1(VALU_DEP_2)
	v_dual_add_f32 v79, v42, v80 :: v_dual_add_f32 v42, v41, v43
	v_fmamk_f32 v41, v89, 0xbeb58ec6, v62
	v_dual_fmac_f32 v40, 0xbf3f9e67, v86 :: v_dual_add_f32 v77, v36, v68
	v_add_f32_e32 v81, v41, v61
	v_fma_f32 v60, 0x3f116cb1, v89, -v60
	s_delay_alu instid0(VALU_DEP_3) | instskip(NEXT) | instid1(VALU_DEP_2)
	v_dual_add_f32 v36, v40, v64 :: v_dual_mul_f32 v61, 0x3f7e222b, v83
	v_dual_mul_f32 v40, 0xbf6f5d39, v83 :: v_dual_add_f32 v43, v60, v70
	v_fma_f32 v60, 0xbeb58ec6, v89, -v62
	v_mul_f32_e32 v62, 0x3f7e222b, v88
	s_delay_alu instid0(VALU_DEP_3) | instskip(NEXT) | instid1(VALU_DEP_3)
	v_fma_f32 v63, 0xbeb58ec6, v86, -v40
	v_dual_fmac_f32 v40, 0xbeb58ec6, v86 :: v_dual_add_f32 v41, v60, v84
	v_mul_lo_u16 v60, v154, 13
	s_delay_alu instid0(VALU_DEP_4) | instskip(SKIP_4) | instid1(VALU_DEP_4)
	v_fmamk_f32 v64, v89, 0x3df6dbef, v62
	v_fma_f32 v62, 0x3df6dbef, v89, -v62
	v_add_f32_e32 v80, v63, v82
	v_fma_f32 v63, 0x3df6dbef, v86, -v61
	v_fmac_f32_e32 v61, 0x3df6dbef, v86
	v_dual_add_f32 v83, v62, v67 :: v_dual_and_b32 v60, 0xffff, v60
	v_add_f32_e32 v40, v40, v71
	s_delay_alu instid0(VALU_DEP_4) | instskip(NEXT) | instid1(VALU_DEP_4)
	v_dual_add_f32 v84, v63, v85 :: v_dual_add_f32 v85, v64, v87
	v_add_f32_e32 v82, v61, v90
	s_delay_alu instid0(VALU_DEP_4)
	v_lshl_add_u32 v161, v60, 3, v155
	ds_store_2addr_b64 v161, v[46:47], v[26:27] offset1:1
	ds_store_2addr_b64 v161, v[30:31], v[50:51] offset0:2 offset1:3
	ds_store_2addr_b64 v161, v[34:35], v[52:53] offset0:4 offset1:5
	;; [unrolled: 1-line block ×5, first 2 shown]
	ds_store_b64 v161, v[24:25] offset:96
	s_and_saveexec_b32 s0, vcc_lo
	s_cbranch_execz .LBB0_7
; %bb.6:
	v_dual_add_f32 v1, v3, v1 :: v_dual_add_f32 v0, v2, v0
	v_lshl_add_u32 v2, v157, 3, v155
	s_delay_alu instid0(VALU_DEP_2) | instskip(NEXT) | instid1(VALU_DEP_1)
	v_dual_add_f32 v1, v21, v1 :: v_dual_add_f32 v0, v20, v0
	v_dual_add_f32 v1, v23, v1 :: v_dual_add_f32 v0, v22, v0
	s_delay_alu instid0(VALU_DEP_1) | instskip(NEXT) | instid1(VALU_DEP_1)
	v_dual_add_f32 v1, v17, v1 :: v_dual_add_f32 v0, v16, v0
	v_dual_add_f32 v1, v19, v1 :: v_dual_add_f32 v0, v18, v0
	s_delay_alu instid0(VALU_DEP_1) | instskip(NEXT) | instid1(VALU_DEP_1)
	;; [unrolled: 3-line block ×4, first 2 shown]
	v_dual_add_f32 v1, v13, v1 :: v_dual_add_f32 v0, v12, v0
	v_dual_add_f32 v1, v15, v1 :: v_dual_add_f32 v0, v14, v0
	s_delay_alu instid0(VALU_DEP_1)
	v_dual_add_f32 v1, v49, v1 :: v_dual_add_f32 v0, v48, v0
	ds_store_2addr_b64 v2, v[78:79], v[80:81] offset0:4 offset1:5
	ds_store_2addr_b64 v2, v[84:85], v[82:83] offset0:6 offset1:7
	;; [unrolled: 1-line block ×4, first 2 shown]
	ds_store_2addr_b64 v2, v[0:1], v[72:73] offset1:1
	ds_store_2addr_b64 v2, v[74:75], v[76:77] offset0:2 offset1:3
	ds_store_b64 v2, v[149:150] offset:96
.LBB0_7:
	s_wait_alu 0xfffe
	s_or_b32 exec_lo, exec_lo, s0
	v_add_nc_u32_e32 v2, 0x800, v153
	v_add_nc_u32_e32 v0, 0x400, v153
	;; [unrolled: 1-line block ×6, first 2 shown]
	global_wb scope:SCOPE_SE
	s_wait_dscnt 0x0
	s_barrier_signal -1
	s_barrier_wait -1
	global_inv scope:SCOPE_SE
	ds_load_2addr_b64 v[44:47], v153 offset1:91
	ds_load_2addr_b64 v[48:51], v0 offset0:67 offset1:158
	ds_load_2addr_b64 v[68:71], v2 offset0:134 offset1:225
	ds_load_2addr_b64 v[64:67], v1 offset0:73 offset1:164
	ds_load_2addr_b64 v[60:63], v3 offset0:12 offset1:103
	ds_load_2addr_b64 v[56:59], v4 offset0:79 offset1:170
	ds_load_2addr_b64 v[52:55], v5 offset0:146 offset1:237
	v_cmp_gt_u16_e64 s0, 13, v154
	s_delay_alu instid0(VALU_DEP_1)
	s_and_saveexec_b32 s1, s0
	s_cbranch_execz .LBB0_9
; %bb.8:
	ds_load_2addr_b64 v[1:4], v1 offset0:60 offset1:255
	s_wait_dscnt 0x0
	v_dual_mov_b32 v78, v3 :: v_dual_add_nc_u32 v9, 0x1e00, v153
	ds_load_2addr_b64 v[5:8], v0 offset0:54 offset1:249
	ds_load_2addr_b64 v[9:12], v9 offset0:2 offset1:197
	ds_load_b64 v[82:83], v153 offset:10816
	v_dual_mov_b32 v79, v4 :: v_dual_mov_b32 v76, v1
	s_wait_dscnt 0x2
	v_dual_mov_b32 v77, v2 :: v_dual_mov_b32 v74, v7
	v_dual_mov_b32 v75, v8 :: v_dual_mov_b32 v72, v5
	s_wait_dscnt 0x1
	v_dual_mov_b32 v84, v11 :: v_dual_mov_b32 v85, v12
	v_dual_mov_b32 v80, v9 :: v_dual_mov_b32 v81, v10
	v_mov_b32_e32 v73, v6
.LBB0_9:
	s_wait_alu 0xfffe
	s_or_b32 exec_lo, exec_lo, s1
	v_and_b32_e32 v0, 0xff, v154
	v_add_co_u32 v93, null, 0xb6, v154
	s_delay_alu instid0(VALU_DEP_2) | instskip(NEXT) | instid1(VALU_DEP_1)
	v_mul_lo_u16 v0, 0x4f, v0
	v_lshrrev_b16 v86, 10, v0
	s_delay_alu instid0(VALU_DEP_1) | instskip(SKIP_1) | instid1(VALU_DEP_2)
	v_mul_lo_u16 v1, v86, 13
	v_and_b32_e32 v86, 0xffff, v86
	v_sub_nc_u16 v1, v154, v1
	s_delay_alu instid0(VALU_DEP_2) | instskip(NEXT) | instid1(VALU_DEP_2)
	v_mul_u32_u24_e32 v86, 0x5b, v86
	v_and_b32_e32 v88, 0xff, v1
	s_delay_alu instid0(VALU_DEP_1) | instskip(NEXT) | instid1(VALU_DEP_1)
	v_mul_u32_u24_e32 v1, 6, v88
	v_lshlrev_b32_e32 v1, 3, v1
	s_clause 0x1
	global_load_b128 v[24:27], v1, s[2:3]
	global_load_b128 v[32:35], v1, s[2:3] offset:16
	v_and_b32_e32 v0, 0xff, v92
	s_delay_alu instid0(VALU_DEP_1) | instskip(NEXT) | instid1(VALU_DEP_1)
	v_mul_lo_u16 v0, 0x4f, v0
	v_lshrrev_b16 v87, 10, v0
	s_delay_alu instid0(VALU_DEP_1) | instskip(SKIP_1) | instid1(VALU_DEP_2)
	v_mul_lo_u16 v0, v87, 13
	v_and_b32_e32 v87, 0xffff, v87
	v_sub_nc_u16 v0, v92, v0
	s_delay_alu instid0(VALU_DEP_1)
	v_and_b32_e32 v89, 0xff, v0
	s_wait_loadcnt_dscnt 0x2
	v_dual_mul_f32 v97, v60, v35 :: v_dual_add_nc_u32 v86, v86, v88
	v_mul_f32_e32 v88, v69, v27
	v_mul_f32_e32 v90, v65, v33
	v_mul_u32_u24_e32 v87, 0x5b, v87
	v_mul_f32_e32 v96, v61, v35
	v_lshl_add_u32 v159, v86, 3, v155
	v_mul_f32_e32 v86, v49, v25
	v_mul_u32_u24_e32 v0, 6, v89
	v_mul_f32_e32 v91, v64, v33
	v_add_nc_u32_e32 v87, v87, v89
	v_mul_f32_e32 v89, v68, v27
	v_fma_f32 v64, v64, v32, -v90
	v_lshlrev_b32_e32 v0, 3, v0
	s_clause 0x1
	global_load_b128 v[28:31], v1, s[2:3] offset:32
	global_load_b128 v[20:23], v0, s[2:3]
	v_and_b32_e32 v94, 0xffff, v93
	s_clause 0x1
	global_load_b128 v[16:19], v0, s[2:3] offset:16
	global_load_b128 v[12:15], v0, s[2:3] offset:32
	v_lshl_add_u32 v158, v87, 3, v155
	v_mul_f32_e32 v87, v48, v25
	v_fma_f32 v48, v48, v24, -v86
	v_fma_f32 v60, v60, v34, -v96
	v_fmac_f32_e32 v89, v69, v26
	v_fmac_f32_e32 v91, v65, v32
	;; [unrolled: 1-line block ×3, first 2 shown]
	v_fma_f32 v49, v68, v26, -v88
	v_fmac_f32_e32 v97, v61, v34
	s_wait_loadcnt_dscnt 0x300
	v_mul_f32_e32 v101, v53, v31
	v_mul_u32_u24_e32 v1, 0x4ec5, v94
	s_wait_loadcnt 0x1
	v_dual_mul_f32 v100, v56, v29 :: v_dual_mul_f32 v109, v63, v19
	s_wait_loadcnt 0x0
	v_dual_mul_f32 v102, v52, v31 :: v_dual_mul_f32 v111, v59, v13
	v_lshrrev_b32_e32 v1, 18, v1
	v_dual_mul_f32 v104, v50, v21 :: v_dual_mul_f32 v113, v55, v15
	v_mul_f32_e32 v105, v71, v23
	v_mul_f32_e32 v106, v70, v23
	s_delay_alu instid0(VALU_DEP_4)
	v_mul_lo_u16 v0, v1, 13
	v_mul_f32_e32 v107, v67, v17
	v_mul_f32_e32 v108, v66, v17
	;; [unrolled: 1-line block ×4, first 2 shown]
	v_sub_nc_u16 v95, v93, v0
	v_fma_f32 v52, v52, v30, -v101
	v_fma_f32 v58, v58, v12, -v111
	v_mul_f32_e32 v99, v57, v29
	v_mul_f32_e32 v103, v51, v21
	v_mul_lo_u16 v0, v95, 6
	v_and_b32_e32 v162, 0xffff, v95
	s_delay_alu instid0(VALU_DEP_4) | instskip(NEXT) | instid1(VALU_DEP_4)
	v_fma_f32 v56, v56, v28, -v99
	v_fma_f32 v50, v50, v20, -v103
	s_delay_alu instid0(VALU_DEP_4) | instskip(NEXT) | instid1(VALU_DEP_1)
	v_and_b32_e32 v0, 0xffff, v0
	v_lshlrev_b32_e32 v8, 3, v0
	s_clause 0x2
	global_load_b128 v[4:7], v8, s[2:3]
	global_load_b128 v[0:3], v8, s[2:3] offset:16
	global_load_b128 v[8:11], v8, s[2:3] offset:32
	v_mul_f32_e32 v114, v54, v15
	v_fmac_f32_e32 v100, v57, v28
	v_fmac_f32_e32 v102, v53, v30
	;; [unrolled: 1-line block ×3, first 2 shown]
	v_fma_f32 v51, v70, v22, -v105
	v_fmac_f32_e32 v106, v71, v22
	v_fma_f32 v53, v66, v16, -v107
	v_fmac_f32_e32 v108, v67, v16
	;; [unrolled: 2-line block ×3, first 2 shown]
	v_fmac_f32_e32 v112, v59, v12
	v_fma_f32 v54, v54, v14, -v113
	global_wb scope:SCOPE_SE
	s_wait_loadcnt 0x0
	s_barrier_signal -1
	s_barrier_wait -1
	global_inv scope:SCOPE_SE
	v_mul_f32_e32 v59, v74, v5
	v_mul_f32_e32 v61, v77, v7
	;; [unrolled: 1-line block ×3, first 2 shown]
	v_dual_mul_f32 v62, v76, v7 :: v_dual_mul_f32 v63, v79, v1
	s_delay_alu instid0(VALU_DEP_4)
	v_fmac_f32_e32 v59, v75, v4
	v_dual_mul_f32 v65, v78, v1 :: v_dual_mul_f32 v66, v81, v3
	v_dual_mul_f32 v67, v80, v3 :: v_dual_mul_f32 v68, v85, v9
	v_fmac_f32_e32 v71, v83, v10
	v_dual_mul_f32 v69, v84, v9 :: v_dual_fmac_f32 v114, v55, v14
	v_mul_f32_e32 v55, v75, v5
	s_delay_alu instid0(VALU_DEP_4) | instskip(SKIP_2) | instid1(VALU_DEP_4)
	v_dual_mul_f32 v70, v83, v11 :: v_dual_fmac_f32 v67, v81, v2
	v_fma_f32 v61, v76, v6, -v61
	v_fmac_f32_e32 v62, v77, v6
	v_fma_f32 v55, v74, v4, -v55
	v_fma_f32 v63, v78, v0, -v63
	v_fmac_f32_e32 v65, v79, v0
	v_add_f32_e32 v79, v91, v97
	v_fma_f32 v66, v80, v2, -v66
	v_fma_f32 v68, v84, v8, -v68
	v_fmac_f32_e32 v69, v85, v8
	v_fma_f32 v70, v82, v10, -v70
	v_dual_add_f32 v74, v48, v52 :: v_dual_add_f32 v75, v87, v102
	v_sub_f32_e32 v48, v48, v52
	v_dual_sub_f32 v52, v87, v102 :: v_dual_add_f32 v77, v89, v100
	v_dual_add_f32 v76, v49, v56 :: v_dual_add_f32 v81, v104, v114
	v_dual_sub_f32 v49, v49, v56 :: v_dual_add_f32 v80, v50, v54
	v_dual_sub_f32 v56, v89, v100 :: v_dual_add_f32 v85, v108, v110
	v_add_f32_e32 v78, v64, v60
	v_dual_sub_f32 v60, v60, v64 :: v_dual_add_f32 v87, v77, v75
	v_dual_sub_f32 v64, v97, v91 :: v_dual_add_f32 v83, v106, v112
	v_dual_sub_f32 v50, v50, v54 :: v_dual_sub_f32 v89, v77, v75
	v_sub_f32_e32 v54, v104, v114
	s_delay_alu instid0(VALU_DEP_3)
	v_dual_add_f32 v82, v51, v58 :: v_dual_add_f32 v91, v64, v56
	v_dual_sub_f32 v51, v51, v58 :: v_dual_sub_f32 v58, v106, v112
	v_dual_sub_f32 v75, v75, v79 :: v_dual_add_f32 v84, v53, v57
	v_sub_f32_e32 v97, v64, v56
	v_sub_f32_e32 v53, v57, v53
	v_dual_sub_f32 v57, v110, v108 :: v_dual_add_f32 v86, v76, v74
	v_dual_sub_f32 v77, v79, v77 :: v_dual_sub_f32 v88, v76, v74
	v_dual_sub_f32 v99, v49, v48 :: v_dual_sub_f32 v74, v74, v78
	v_sub_f32_e32 v76, v78, v76
	v_add_f32_e32 v90, v60, v49
	v_dual_sub_f32 v96, v60, v49 :: v_dual_sub_f32 v101, v82, v80
	v_dual_sub_f32 v60, v48, v60 :: v_dual_add_f32 v103, v53, v51
	v_dual_sub_f32 v64, v52, v64 :: v_dual_sub_f32 v105, v53, v51
	v_dual_sub_f32 v56, v56, v52 :: v_dual_sub_f32 v53, v50, v53
	v_dual_add_f32 v49, v82, v80 :: v_dual_add_f32 v100, v83, v81
	v_sub_f32_e32 v102, v83, v81
	v_sub_f32_e32 v80, v80, v84
	v_dual_sub_f32 v82, v84, v82 :: v_dual_sub_f32 v83, v85, v83
	v_add_f32_e32 v104, v57, v58
	v_sub_f32_e32 v51, v51, v50
	v_add_f32_e32 v107, v55, v70
	v_add_f32_e32 v108, v59, v71
	v_sub_f32_e32 v55, v55, v70
	v_dual_sub_f32 v59, v59, v71 :: v_dual_add_f32 v70, v61, v68
	v_add_f32_e32 v71, v62, v69
	v_sub_f32_e32 v81, v81, v85
	v_dual_sub_f32 v106, v57, v58 :: v_dual_sub_f32 v57, v54, v57
	v_dual_sub_f32 v58, v58, v54 :: v_dual_sub_f32 v61, v61, v68
	v_sub_f32_e32 v62, v62, v69
	v_dual_add_f32 v68, v63, v66 :: v_dual_mul_f32 v75, 0x3f4a47b2, v75
	v_add_f32_e32 v69, v65, v67
	v_sub_f32_e32 v63, v66, v63
	v_dual_sub_f32 v65, v67, v65 :: v_dual_add_f32 v66, v78, v86
	v_dual_add_f32 v67, v79, v87 :: v_dual_add_f32 v78, v90, v48
	v_dual_add_f32 v52, v91, v52 :: v_dual_mul_f32 v91, 0x3f5ff5aa, v99
	v_dual_mul_f32 v74, 0x3f4a47b2, v74 :: v_dual_add_f32 v85, v85, v100
	v_dual_mul_f32 v79, 0x3d64c772, v76 :: v_dual_mul_f32 v86, 0x3d64c772, v77
	v_dual_mul_f32 v87, 0xbf08b237, v96 :: v_dual_mul_f32 v90, 0xbf08b237, v97
	v_mul_f32_e32 v96, 0x3f5ff5aa, v56
	v_dual_add_f32 v84, v84, v49 :: v_dual_add_f32 v109, v70, v107
	v_dual_add_f32 v50, v103, v50 :: v_dual_mul_f32 v81, 0x3f4a47b2, v81
	v_dual_add_f32 v54, v104, v54 :: v_dual_mul_f32 v103, 0xbf08b237, v105
	v_dual_mul_f32 v80, 0x3f4a47b2, v80 :: v_dual_sub_f32 v111, v70, v107
	v_mul_f32_e32 v97, 0x3d64c772, v82
	v_dual_mul_f32 v105, 0x3f5ff5aa, v51 :: v_dual_add_f32 v110, v71, v108
	v_dual_mul_f32 v100, 0x3d64c772, v83 :: v_dual_sub_f32 v107, v107, v68
	v_mul_f32_e32 v104, 0xbf08b237, v106
	v_dual_mul_f32 v106, 0x3f5ff5aa, v58 :: v_dual_add_f32 v113, v63, v61
	v_dual_sub_f32 v112, v71, v108 :: v_dual_add_f32 v49, v45, v67
	v_sub_f32_e32 v108, v108, v69
	v_dual_sub_f32 v70, v68, v70 :: v_dual_sub_f32 v115, v63, v61
	v_sub_f32_e32 v71, v69, v71
	v_add_f32_e32 v114, v65, v62
	v_dual_sub_f32 v116, v65, v62 :: v_dual_sub_f32 v65, v59, v65
	v_sub_f32_e32 v61, v61, v55
	v_dual_sub_f32 v62, v62, v59 :: v_dual_fmamk_f32 v77, v77, 0x3d64c772, v75
	v_dual_add_f32 v48, v44, v66 :: v_dual_add_f32 v47, v47, v85
	v_dual_fmamk_f32 v76, v76, 0x3d64c772, v74 :: v_dual_fmamk_f32 v83, v83, 0x3d64c772, v81
	v_fma_f32 v79, 0x3f3bfb3b, v88, -v79
	v_fma_f32 v86, 0x3f3bfb3b, v89, -v86
	;; [unrolled: 1-line block ×4, first 2 shown]
	v_fmamk_f32 v88, v60, 0x3eae86e6, v87
	v_fmamk_f32 v89, v64, 0x3eae86e6, v90
	v_fma_f32 v87, 0x3f5ff5aa, v99, -v87
	v_fma_f32 v56, 0x3f5ff5aa, v56, -v90
	;; [unrolled: 1-line block ×4, first 2 shown]
	v_add_f32_e32 v46, v46, v84
	v_fmamk_f32 v82, v82, 0x3d64c772, v80
	v_fma_f32 v90, 0x3f3bfb3b, v101, -v97
	v_fma_f32 v80, 0xbf3bfb3b, v101, -v80
	v_fmamk_f32 v96, v53, 0x3eae86e6, v103
	v_fma_f32 v99, 0x3f5ff5aa, v51, -v103
	v_fma_f32 v101, 0xbeae86e6, v53, -v105
	v_add_f32_e32 v51, v68, v109
	v_add_f32_e32 v53, v69, v110
	v_sub_f32_e32 v63, v55, v63
	v_fma_f32 v91, 0x3f3bfb3b, v102, -v100
	v_fma_f32 v81, 0xbf3bfb3b, v102, -v81
	v_fmamk_f32 v97, v57, 0x3eae86e6, v104
	v_fma_f32 v100, 0x3f5ff5aa, v58, -v104
	v_fma_f32 v102, 0xbeae86e6, v57, -v106
	v_add_f32_e32 v57, v114, v59
	v_dual_add_f32 v55, v113, v55 :: v_dual_mul_f32 v68, 0x3d64c772, v70
	v_dual_mul_f32 v58, 0x3f4a47b2, v107 :: v_dual_mul_f32 v59, 0x3f4a47b2, v108
	v_mul_f32_e32 v69, 0x3d64c772, v71
	v_dual_mul_f32 v103, 0xbf08b237, v115 :: v_dual_mul_f32 v104, 0xbf08b237, v116
	v_dual_mul_f32 v105, 0x3f5ff5aa, v61 :: v_dual_mul_f32 v106, 0x3f5ff5aa, v62
	v_dual_fmamk_f32 v66, v66, 0xbf955555, v48 :: v_dual_fmamk_f32 v67, v67, 0xbf955555, v49
	v_dual_fmac_f32 v88, 0x3ee1c552, v78 :: v_dual_fmac_f32 v89, 0x3ee1c552, v52
	v_dual_fmac_f32 v87, 0x3ee1c552, v78 :: v_dual_fmac_f32 v56, 0x3ee1c552, v52
	v_dual_fmac_f32 v60, 0x3ee1c552, v78 :: v_dual_add_f32 v45, v73, v53
	v_dual_fmac_f32 v64, 0x3ee1c552, v52 :: v_dual_fmac_f32 v97, 0x3ee1c552, v54
	v_fmamk_f32 v52, v84, 0xbf955555, v46
	v_fmamk_f32 v78, v85, 0xbf955555, v47
	v_dual_fmac_f32 v99, 0x3ee1c552, v50 :: v_dual_add_f32 v44, v72, v51
	v_fmac_f32_e32 v96, 0x3ee1c552, v50
	v_fmac_f32_e32 v101, 0x3ee1c552, v50
	v_dual_fmamk_f32 v84, v70, 0x3d64c772, v58 :: v_dual_fmamk_f32 v85, v71, 0x3d64c772, v59
	v_fma_f32 v107, 0x3f3bfb3b, v111, -v68
	v_fma_f32 v108, 0x3f3bfb3b, v112, -v69
	;; [unrolled: 1-line block ×4, first 2 shown]
	v_dual_fmamk_f32 v111, v63, 0x3eae86e6, v103 :: v_dual_fmamk_f32 v112, v65, 0x3eae86e6, v104
	v_fma_f32 v103, 0x3f5ff5aa, v61, -v103
	v_fma_f32 v104, 0x3f5ff5aa, v62, -v104
	;; [unrolled: 1-line block ×4, first 2 shown]
	v_dual_add_f32 v61, v76, v66 :: v_dual_add_f32 v62, v77, v67
	v_dual_add_f32 v58, v79, v66 :: v_dual_add_f32 v59, v86, v67
	v_dual_add_f32 v63, v74, v66 :: v_dual_add_f32 v70, v80, v52
	v_dual_add_f32 v65, v75, v67 :: v_dual_add_f32 v72, v82, v52
	v_dual_add_f32 v71, v81, v78 :: v_dual_fmamk_f32 v74, v51, 0xbf955555, v44
	v_fmamk_f32 v75, v53, 0xbf955555, v45
	v_dual_fmac_f32 v100, 0x3ee1c552, v54 :: v_dual_fmac_f32 v111, 0x3ee1c552, v55
	v_dual_fmac_f32 v102, 0x3ee1c552, v54 :: v_dual_fmac_f32 v103, 0x3ee1c552, v55
	v_dual_add_f32 v73, v83, v78 :: v_dual_add_f32 v68, v90, v52
	v_dual_add_f32 v69, v91, v78 :: v_dual_fmac_f32 v112, 0x3ee1c552, v57
	v_dual_fmac_f32 v104, 0x3ee1c552, v57 :: v_dual_fmac_f32 v105, 0x3ee1c552, v55
	v_dual_fmac_f32 v106, 0x3ee1c552, v57 :: v_dual_sub_f32 v51, v62, v88
	v_dual_add_f32 v50, v89, v61 :: v_dual_add_f32 v55, v87, v59
	v_dual_add_f32 v52, v64, v63 :: v_dual_sub_f32 v53, v65, v60
	v_dual_sub_f32 v54, v58, v56 :: v_dual_sub_f32 v57, v59, v87
	v_add_f32_e32 v56, v56, v58
	v_dual_sub_f32 v58, v63, v64 :: v_dual_add_f32 v59, v60, v65
	v_dual_sub_f32 v60, v61, v89 :: v_dual_add_f32 v61, v88, v62
	v_dual_add_f32 v62, v97, v72 :: v_dual_sub_f32 v65, v71, v101
	v_dual_sub_f32 v72, v72, v97 :: v_dual_add_f32 v77, v85, v75
	v_dual_add_f32 v76, v84, v74 :: v_dual_add_f32 v79, v110, v75
	v_dual_add_f32 v78, v107, v74 :: v_dual_add_f32 v75, v108, v75
	v_add_f32_e32 v74, v109, v74
	v_sub_f32_e32 v63, v73, v96
	s_delay_alu instid0(VALU_DEP_4) | instskip(NEXT) | instid1(VALU_DEP_3)
	v_dual_sub_f32 v87, v79, v105 :: v_dual_add_f32 v84, v112, v76
	v_dual_sub_f32 v85, v77, v111 :: v_dual_add_f32 v86, v106, v74
	v_dual_add_f32 v89, v103, v75 :: v_dual_sub_f32 v88, v78, v104
	v_dual_sub_f32 v91, v75, v103 :: v_dual_add_f32 v90, v104, v78
	v_dual_add_f32 v81, v105, v79 :: v_dual_sub_f32 v80, v74, v106
	v_dual_add_f32 v83, v111, v77 :: v_dual_sub_f32 v82, v76, v112
	v_dual_add_f32 v64, v102, v70 :: v_dual_add_f32 v67, v99, v69
	v_dual_sub_f32 v66, v68, v100 :: v_dual_sub_f32 v69, v69, v99
	v_dual_add_f32 v68, v100, v68 :: v_dual_add_f32 v71, v101, v71
	v_dual_sub_f32 v70, v70, v102 :: v_dual_add_f32 v73, v96, v73
	ds_store_2addr_b64 v159, v[48:49], v[50:51] offset1:13
	ds_store_2addr_b64 v159, v[52:53], v[54:55] offset0:26 offset1:39
	ds_store_2addr_b64 v159, v[56:57], v[58:59] offset0:52 offset1:65
	ds_store_b64 v159, v[60:61] offset:624
	ds_store_2addr_b64 v158, v[46:47], v[62:63] offset1:13
	ds_store_2addr_b64 v158, v[64:65], v[66:67] offset0:26 offset1:39
	ds_store_2addr_b64 v158, v[68:69], v[70:71] offset0:52 offset1:65
	ds_store_b64 v158, v[72:73] offset:624
	s_and_saveexec_b32 s1, s0
	s_cbranch_execz .LBB0_11
; %bb.10:
	v_lshl_add_u32 v46, v162, 3, v155
	s_delay_alu instid0(VALU_DEP_1)
	v_add_nc_u32_e32 v47, 0x2400, v46
	v_add_nc_u32_e32 v48, 0x2800, v46
	ds_store_2addr_b64 v47, v[44:45], v[84:85] offset0:122 offset1:135
	ds_store_2addr_b64 v48, v[86:87], v[88:89] offset0:20 offset1:33
	;; [unrolled: 1-line block ×3, first 2 shown]
	ds_store_b64 v46, v[82:83] offset:10816
.LBB0_11:
	s_wait_alu 0xfffe
	s_or_b32 exec_lo, exec_lo, s1
	v_mul_u32_u24_e32 v48, 0x6817, v94
	v_lshlrev_b32_e32 v79, 5, v154
	global_wb scope:SCOPE_SE
	s_wait_dscnt 0x0
	s_barrier_signal -1
	s_barrier_wait -1
	v_lshrrev_b32_e32 v48, 16, v48
	global_inv scope:SCOPE_SE
	s_clause 0x1
	global_load_b128 v[52:55], v79, s[2:3] offset:624
	global_load_b128 v[44:47], v79, s[2:3] offset:640
	v_add_nc_u32_e32 v100, 0x400, v153
	v_add_nc_u32_e32 v99, 0x1000, v153
	v_sub_nc_u16 v49, v93, v48
	v_add_nc_u32_e32 v102, 0x1400, v153
	v_add_nc_u32_e32 v112, 0x2000, v153
	;; [unrolled: 1-line block ×4, first 2 shown]
	v_lshrrev_b16 v49, 1, v49
	s_delay_alu instid0(VALU_DEP_1) | instskip(NEXT) | instid1(VALU_DEP_1)
	v_add_nc_u16 v48, v49, v48
	v_lshrrev_b16 v48, 6, v48
	s_delay_alu instid0(VALU_DEP_1) | instskip(NEXT) | instid1(VALU_DEP_1)
	v_mul_lo_u16 v48, 0x5b, v48
	v_sub_nc_u16 v103, v93, v48
	s_delay_alu instid0(VALU_DEP_1) | instskip(NEXT) | instid1(VALU_DEP_1)
	v_lshlrev_b16 v48, 5, v103
	v_and_b32_e32 v48, 0xffff, v48
	s_delay_alu instid0(VALU_DEP_1)
	v_add_co_u32 v48, s1, s2, v48
	s_wait_alu 0xf1ff
	v_add_co_ci_u32_e64 v49, null, s3, 0, s1
	s_clause 0x1
	global_load_b128 v[56:59], v[48:49], off offset:624
	global_load_b128 v[48:51], v[48:49], off offset:640
	ds_load_2addr_b64 v[60:63], v153 offset1:91
	ds_load_b64 v[64:65], v153 offset:10192
	ds_load_2addr_b64 v[67:70], v100 offset0:54 offset1:145
	ds_load_2addr_b64 v[71:74], v99 offset0:34 offset1:125
	ds_load_2addr_b64 v[75:78], v102 offset0:88 offset1:179
	ds_load_2addr_b64 v[94:97], v112 offset0:68 offset1:159
	ds_load_2addr_b64 v[105:108], v101 offset0:108 offset1:199
	ds_load_2addr_b64 v[113:116], v104 offset0:142 offset1:233
	v_and_b32_e32 v103, 0xffff, v103
	v_lshlrev_b32_e32 v66, 4, v154
	v_lshlrev_b32_e32 v92, 4, v92
	global_wb scope:SCOPE_SE
	s_wait_loadcnt_dscnt 0x0
	s_barrier_signal -1
	s_barrier_wait -1
	global_inv scope:SCOPE_SE
	v_mul_f32_e32 v111, v70, v53
	v_mul_f32_e32 v151, v78, v45
	v_dual_mul_f32 v117, v69, v53 :: v_dual_mul_f32 v118, v72, v55
	v_add_co_u32 v79, s1, s2, v79
	v_mul_f32_e32 v152, v77, v45
	v_lshl_add_u32 v160, v103, 3, v155
	v_mul_f32_e32 v156, v95, v47
	s_wait_alu 0xf1ff
	v_add_co_ci_u32_e64 v110, null, s3, 0, s1
	v_sub_co_u32 v109, s1, v79, v66
	v_dual_mul_f32 v164, v106, v53 :: v_dual_add_nc_u32 v79, 0x1800, v160
	v_dual_mul_f32 v168, v114, v45 :: v_dual_add_nc_u32 v103, 0x2000, v160
	v_mul_f32_e32 v119, v71, v55
	v_mul_f32_e32 v163, v94, v47
	v_dual_mul_f32 v165, v105, v53 :: v_dual_fmac_f32 v152, v78, v44
	v_mul_f32_e32 v166, v74, v55
	v_mul_f32_e32 v167, v73, v55
	v_dual_mul_f32 v170, v97, v47 :: v_dual_fmac_f32 v117, v70, v52
	v_mul_f32_e32 v171, v96, v47
	v_fma_f32 v69, v69, v52, -v111
	v_fma_f32 v70, v71, v54, -v118
	;; [unrolled: 1-line block ×4, first 2 shown]
	v_fmac_f32_e32 v119, v72, v54
	v_fmac_f32_e32 v163, v95, v46
	v_fma_f32 v71, v105, v52, -v164
	v_fma_f32 v72, v73, v54, -v166
	v_dual_fmac_f32 v167, v74, v54 :: v_dual_add_f32 v118, v61, v117
	v_fma_f32 v94, v113, v44, -v168
	v_dual_fmac_f32 v171, v97, v46 :: v_dual_sub_f32 v164, v70, v77
	v_add_f32_e32 v74, v70, v77
	v_mul_f32_e32 v169, v113, v45
	v_fma_f32 v113, v96, v46, -v170
	v_dual_add_f32 v96, v69, v111 :: v_dual_fmac_f32 v165, v106, v52
	s_delay_alu instid0(VALU_DEP_3)
	v_dual_sub_f32 v106, v117, v163 :: v_dual_fmac_f32 v169, v114, v44
	v_dual_sub_f32 v78, v69, v70 :: v_dual_add_f32 v73, v60, v69
	v_dual_sub_f32 v156, v69, v111 :: v_dual_sub_f32 v95, v111, v77
	v_dual_sub_f32 v166, v117, v119 :: v_dual_sub_f32 v97, v70, v69
	;; [unrolled: 1-line block ×3, first 2 shown]
	v_dual_add_f32 v174, v72, v94 :: v_dual_add_f32 v151, v119, v152
	v_add_f32_e32 v170, v117, v163
	v_dual_add_f32 v173, v62, v71 :: v_dual_sub_f32 v176, v167, v169
	v_dual_sub_f32 v175, v165, v171 :: v_dual_add_f32 v182, v63, v165
	v_sub_f32_e32 v114, v119, v152
	v_dual_sub_f32 v117, v119, v117 :: v_dual_sub_f32 v172, v152, v163
	v_dual_sub_f32 v177, v71, v72 :: v_dual_sub_f32 v178, v113, v94
	v_dual_add_f32 v179, v71, v113 :: v_dual_sub_f32 v180, v72, v71
	v_dual_sub_f32 v181, v94, v113 :: v_dual_sub_f32 v186, v165, v167
	v_dual_add_f32 v183, v167, v169 :: v_dual_add_f32 v188, v165, v171
	v_dual_sub_f32 v184, v71, v113 :: v_dual_sub_f32 v185, v72, v94
	v_dual_sub_f32 v187, v171, v169 :: v_dual_add_f32 v190, v78, v95
	v_sub_f32_e32 v165, v167, v165
	v_add_f32_e32 v73, v73, v70
	v_fma_f32 v69, -0.5, v74, v60
	v_fma_f32 v60, -0.5, v96, v60
	v_dual_add_f32 v191, v97, v105 :: v_dual_add_f32 v74, v118, v119
	v_fma_f32 v70, -0.5, v151, v61
	v_fma_f32 v61, -0.5, v170, v61
	v_add_f32_e32 v95, v173, v72
	v_fma_f32 v71, -0.5, v174, v62
	v_add_f32_e32 v97, v182, v167
	v_dual_sub_f32 v189, v169, v171 :: v_dual_add_f32 v118, v166, v168
	v_add_f32_e32 v117, v117, v172
	v_dual_add_f32 v119, v177, v178 :: v_dual_add_f32 v152, v74, v152
	v_fma_f32 v72, -0.5, v183, v63
	v_dual_add_f32 v166, v186, v187 :: v_dual_add_f32 v105, v73, v77
	v_fmamk_f32 v74, v156, 0xbf737871, v70
	v_dual_fmamk_f32 v78, v164, 0x3f737871, v61 :: v_dual_add_f32 v167, v95, v94
	v_fmamk_f32 v94, v175, 0x3f737871, v71
	v_dual_fmamk_f32 v73, v106, 0x3f737871, v69 :: v_dual_add_f32 v168, v97, v169
	v_fmamk_f32 v77, v114, 0xbf737871, v60
	v_fma_f32 v62, -0.5, v179, v62
	v_dual_add_f32 v151, v180, v181 :: v_dual_fmac_f32 v70, 0x3f737871, v156
	v_fmac_f32_e32 v69, 0xbf737871, v106
	v_fmac_f32_e32 v60, 0x3f737871, v114
	;; [unrolled: 1-line block ×3, first 2 shown]
	s_delay_alu instid0(VALU_DEP_4)
	v_dual_fmac_f32 v73, 0x3f167918, v114 :: v_dual_fmac_f32 v70, 0x3f167918, v164
	v_dual_fmac_f32 v77, 0x3f167918, v106 :: v_dual_fmac_f32 v94, 0x3f167918, v176
	v_fmac_f32_e32 v74, 0xbf167918, v164
	v_dual_fmac_f32 v63, -0.5, v188 :: v_dual_fmamk_f32 v96, v176, 0xbf737871, v62
	v_fmamk_f32 v95, v184, 0xbf737871, v72
	v_dual_fmac_f32 v72, 0x3f737871, v184 :: v_dual_add_f32 v105, v105, v111
	v_fmac_f32_e32 v60, 0xbf167918, v106
	v_dual_add_f32 v106, v152, v163 :: v_dual_fmac_f32 v69, 0xbf167918, v114
	v_fmac_f32_e32 v78, 0xbf167918, v156
	v_dual_fmac_f32 v61, 0x3f167918, v156 :: v_dual_fmac_f32 v96, 0x3f167918, v175
	v_dual_add_f32 v165, v165, v189 :: v_dual_fmac_f32 v62, 0x3f737871, v176
	v_dual_fmac_f32 v73, 0x3e9e377a, v190 :: v_dual_fmac_f32 v60, 0x3e9e377a, v191
	v_dual_fmac_f32 v77, 0x3e9e377a, v191 :: v_dual_fmac_f32 v74, 0x3e9e377a, v118
	;; [unrolled: 1-line block ×4, first 2 shown]
	v_dual_add_f32 v113, v167, v113 :: v_dual_fmac_f32 v62, 0xbf167918, v175
	v_add_f32_e32 v114, v168, v171
	v_fmac_f32_e32 v71, 0xbf737871, v175
	ds_store_2addr_b64 v153, v[105:106], v[73:74] offset1:91
	ds_store_2addr_b64 v100, v[77:78], v[60:61] offset0:54 offset1:145
	ds_store_2addr_b64 v101, v[69:70], v[113:114] offset0:108 offset1:199
	v_mul_f32_e32 v74, v115, v49
	v_mul_f32_e32 v60, v108, v57
	v_dual_mul_f32 v70, v75, v59 :: v_dual_fmamk_f32 v97, v185, 0x3f737871, v63
	v_dual_mul_f32 v78, v64, v51 :: v_dual_fmac_f32 v63, 0xbf737871, v185
	s_delay_alu instid0(VALU_DEP_4) | instskip(NEXT) | instid1(VALU_DEP_4)
	v_dual_fmac_f32 v95, 0xbf167918, v185 :: v_dual_fmac_f32 v74, v116, v48
	v_fma_f32 v60, v107, v56, -v60
	v_mul_f32_e32 v69, v76, v59
	v_fmac_f32_e32 v70, v76, v58
	v_mul_f32_e32 v73, v116, v49
	v_dual_fmac_f32 v71, 0xbf167918, v176 :: v_dual_fmac_f32 v78, v65, v50
	s_delay_alu instid0(VALU_DEP_4) | instskip(NEXT) | instid1(VALU_DEP_4)
	v_fma_f32 v69, v75, v58, -v69
	v_dual_mul_f32 v61, v107, v57 :: v_dual_add_f32 v114, v70, v74
	s_delay_alu instid0(VALU_DEP_4) | instskip(SKIP_2) | instid1(VALU_DEP_3)
	v_fma_f32 v73, v115, v48, -v73
	v_dual_mul_f32 v77, v65, v51 :: v_dual_fmac_f32 v72, 0x3f167918, v185
	v_fmac_f32_e32 v63, 0x3f167918, v184
	v_dual_fmac_f32 v61, v108, v56 :: v_dual_sub_f32 v116, v69, v73
	s_delay_alu instid0(VALU_DEP_3) | instskip(SKIP_2) | instid1(VALU_DEP_4)
	v_fma_f32 v75, v64, v50, -v77
	v_dual_add_f32 v64, v67, v60 :: v_dual_add_f32 v65, v69, v73
	v_dual_sub_f32 v118, v78, v74 :: v_dual_fmac_f32 v97, 0xbf167918, v184
	v_sub_f32_e32 v76, v61, v78
	v_dual_fmac_f32 v94, 0x3e9e377a, v119 :: v_dual_fmac_f32 v95, 0x3e9e377a, v166
	v_dual_fmac_f32 v71, 0x3e9e377a, v119 :: v_dual_fmac_f32 v72, 0x3e9e377a, v166
	s_delay_alu instid0(VALU_DEP_4)
	v_dual_fmac_f32 v96, 0x3e9e377a, v151 :: v_dual_fmac_f32 v97, 0x3e9e377a, v165
	v_dual_fmac_f32 v62, 0x3e9e377a, v151 :: v_dual_fmac_f32 v63, 0x3e9e377a, v165
	v_dual_sub_f32 v77, v70, v74 :: v_dual_add_f32 v64, v64, v69
	v_dual_sub_f32 v105, v60, v69 :: v_dual_sub_f32 v152, v74, v78
	v_dual_sub_f32 v108, v69, v60 :: v_dual_sub_f32 v115, v60, v75
	v_add_f32_e32 v119, v61, v78
	v_add_f32_e32 v113, v68, v61
	v_sub_f32_e32 v151, v70, v61
	v_add_f32_e32 v107, v60, v75
	v_fma_f32 v60, -0.5, v65, v67
	v_dual_sub_f32 v106, v75, v73 :: v_dual_sub_f32 v111, v73, v75
	v_add_f32_e32 v73, v64, v73
	s_wait_alu 0xf1ff
	v_subrev_co_ci_u32_e64 v110, s1, 0, v110, s1
	v_dual_fmamk_f32 v64, v76, 0x3f737871, v60 :: v_dual_sub_f32 v117, v61, v70
	v_fma_f32 v61, -0.5, v114, v68
	v_dual_fmac_f32 v68, -0.5, v119 :: v_dual_add_f32 v65, v113, v70
	s_delay_alu instid0(VALU_DEP_3) | instskip(SKIP_2) | instid1(VALU_DEP_4)
	v_dual_fmac_f32 v64, 0x3f167918, v77 :: v_dual_add_f32 v105, v105, v106
	v_add_f32_e32 v106, v108, v111
	v_fmac_f32_e32 v60, 0xbf737871, v76
	v_add_f32_e32 v74, v65, v74
	v_add_f32_e32 v108, v151, v152
	v_fma_f32 v67, -0.5, v107, v67
	v_fmamk_f32 v65, v115, 0xbf737871, v61
	v_fmamk_f32 v70, v116, 0x3f737871, v68
	v_fmac_f32_e32 v68, 0xbf737871, v116
	v_fmac_f32_e32 v61, 0x3f737871, v115
	v_fmamk_f32 v69, v77, 0xbf737871, v67
	v_fmac_f32_e32 v67, 0x3f737871, v77
	v_dual_add_f32 v107, v117, v118 :: v_dual_fmac_f32 v60, 0xbf167918, v77
	v_fmac_f32_e32 v65, 0xbf167918, v116
	s_delay_alu instid0(VALU_DEP_4) | instskip(NEXT) | instid1(VALU_DEP_4)
	v_dual_fmac_f32 v69, 0x3f167918, v76 :: v_dual_fmac_f32 v68, 0x3f167918, v115
	v_dual_fmac_f32 v67, 0xbf167918, v76 :: v_dual_fmac_f32 v70, 0xbf167918, v115
	v_dual_fmac_f32 v61, 0x3f167918, v116 :: v_dual_add_f32 v74, v74, v78
	v_dual_add_f32 v73, v73, v75 :: v_dual_fmac_f32 v64, 0x3e9e377a, v105
	s_delay_alu instid0(VALU_DEP_4)
	v_dual_fmac_f32 v65, 0x3e9e377a, v107 :: v_dual_fmac_f32 v68, 0x3e9e377a, v108
	v_dual_fmac_f32 v60, 0x3e9e377a, v105 :: v_dual_fmac_f32 v69, 0x3e9e377a, v106
	;; [unrolled: 1-line block ×3, first 2 shown]
	v_fmac_f32_e32 v61, 0x3e9e377a, v107
	ds_store_2addr_b64 v99, v[94:95], v[96:97] offset0:34 offset1:125
	ds_store_2addr_b64 v102, v[62:63], v[71:72] offset0:88 offset1:179
	;; [unrolled: 1-line block ×4, first 2 shown]
	ds_store_b64 v160, v[60:61] offset:10192
	v_lshlrev_b32_e32 v60, 4, v93
	global_wb scope:SCOPE_SE
	s_wait_dscnt 0x0
	s_barrier_signal -1
	s_barrier_wait -1
	global_inv scope:SCOPE_SE
	s_clause 0x1
	global_load_b128 v[72:75], v92, s[2:3] offset:3536
	global_load_b128 v[68:71], v60, s[2:3] offset:3536
	v_add_nc_u32_e32 v61, 0x1110, v66
	global_load_b128 v[76:79], v[109:110], off offset:3536
	v_add_nc_u32_e32 v60, 0x16c0, v66
	s_clause 0x1
	global_load_b128 v[64:67], v61, s[2:3] offset:3536
	global_load_b128 v[60:63], v60, s[2:3] offset:3536
	ds_load_2addr_b64 v[94:97], v101 offset0:108 offset1:199
	ds_load_2addr_b64 v[105:108], v104 offset0:142 offset1:233
	;; [unrolled: 1-line block ×5, first 2 shown]
	ds_load_2addr_b64 v[171:174], v153 offset1:91
	ds_load_b64 v[92:93], v153 offset:10192
	ds_load_2addr_b64 v[175:178], v100 offset0:54 offset1:145
	v_lshl_add_u32 v156, v154, 3, v155
	s_add_nc_u64 s[2:3], s[12:13], 0x2aa8
	s_delay_alu instid0(VALU_DEP_1)
	v_add_nc_u32_e32 v111, 0xc00, v156
	v_add_nc_u32_e32 v119, 0x1800, v156
	s_wait_loadcnt_dscnt 0x405
	v_mul_f32_e32 v117, v114, v73
	v_mul_f32_e32 v118, v113, v73
	v_mul_f32_e32 v152, v107, v75
	s_wait_loadcnt 0x2
	v_mul_f32_e32 v102, v97, v77
	v_mul_f32_e32 v103, v96, v77
	;; [unrolled: 1-line block ×4, first 2 shown]
	v_fmac_f32_e32 v152, v108, v74
	v_mul_f32_e32 v151, v108, v75
	v_dual_mul_f32 v179, v116, v69 :: v_dual_fmac_f32 v118, v114, v72
	v_mul_f32_e32 v180, v115, v69
	s_wait_dscnt 0x4
	v_mul_f32_e32 v182, v163, v71
	s_wait_loadcnt 0x1
	v_mul_f32_e32 v186, v165, v67
	s_wait_dscnt 0x3
	v_dual_mul_f32 v181, v164, v71 :: v_dual_mul_f32 v184, v167, v65
	v_dual_mul_f32 v185, v166, v67 :: v_dual_fmac_f32 v180, v116, v68
	s_wait_loadcnt 0x0
	v_dual_mul_f32 v187, v170, v61 :: v_dual_fmac_f32 v182, v164, v70
	v_mul_f32_e32 v188, v169, v61
	v_mul_f32_e32 v183, v168, v65
	s_wait_dscnt 0x1
	v_dual_mul_f32 v189, v93, v63 :: v_dual_fmac_f32 v184, v168, v64
	v_mul_f32_e32 v190, v92, v63
	v_fma_f32 v96, v96, v76, -v102
	v_fmac_f32_e32 v103, v97, v76
	v_fma_f32 v97, v105, v78, -v109
	v_fmac_f32_e32 v110, v106, v78
	v_fma_f32 v102, v113, v72, -v117
	v_fma_f32 v105, v107, v74, -v151
	;; [unrolled: 1-line block ×3, first 2 shown]
	v_add_f32_e32 v114, v96, v97
	v_fmac_f32_e32 v186, v166, v66
	v_fma_f32 v107, v163, v70, -v181
	v_fma_f32 v113, v165, v66, -v185
	;; [unrolled: 1-line block ×3, first 2 shown]
	v_fmac_f32_e32 v188, v170, v60
	v_fma_f32 v108, v167, v64, -v183
	v_fma_f32 v92, v92, v62, -v189
	v_dual_fmac_f32 v190, v93, v62 :: v_dual_add_f32 v93, v171, v96
	v_dual_sub_f32 v151, v103, v110 :: v_dual_sub_f32 v164, v118, v152
	v_dual_add_f32 v115, v172, v103 :: v_dual_add_f32 v116, v173, v102
	v_add_f32_e32 v103, v103, v110
	s_wait_dscnt 0x0
	v_dual_add_f32 v117, v102, v105 :: v_dual_add_f32 v170, v176, v180
	v_dual_add_f32 v165, v174, v118 :: v_dual_add_f32 v192, v109, v92
	v_dual_add_f32 v118, v118, v152 :: v_dual_sub_f32 v163, v96, v97
	v_dual_add_f32 v168, v106, v107 :: v_dual_add_f32 v179, v180, v182
	v_add_f32_e32 v194, v95, v188
	v_dual_sub_f32 v166, v102, v105 :: v_dual_add_f32 v167, v175, v106
	v_add_f32_e32 v181, v177, v108
	v_add_f32_e32 v183, v108, v113
	v_dual_sub_f32 v185, v184, v186 :: v_dual_add_f32 v96, v93, v97
	v_dual_add_f32 v187, v178, v184 :: v_dual_add_f32 v184, v184, v186
	v_sub_f32_e32 v193, v188, v190
	v_add_f32_e32 v188, v188, v190
	v_dual_sub_f32 v189, v108, v113 :: v_dual_fmac_f32 v174, -0.5, v118
	v_fma_f32 v102, -0.5, v114, v171
	v_fma_f32 v103, -0.5, v103, v172
	;; [unrolled: 1-line block ×3, first 2 shown]
	v_dual_add_f32 v191, v94, v109 :: v_dual_add_f32 v114, v187, v186
	v_dual_sub_f32 v169, v180, v182 :: v_dual_sub_f32 v180, v106, v107
	v_dual_sub_f32 v195, v109, v92 :: v_dual_add_f32 v108, v170, v182
	v_add_f32_e32 v97, v115, v110
	v_fma_f32 v109, -0.5, v168, v175
	v_fma_f32 v110, -0.5, v179, v176
	v_dual_add_f32 v105, v116, v105 :: v_dual_add_f32 v116, v194, v190
	v_dual_add_f32 v106, v165, v152 :: v_dual_add_f32 v107, v167, v107
	v_fmamk_f32 v152, v166, 0xbf5db3d7, v174
	v_fma_f32 v177, -0.5, v183, v177
	v_fmac_f32_e32 v178, -0.5, v184
	v_fma_f32 v94, -0.5, v192, v94
	v_fmac_f32_e32 v95, -0.5, v188
	v_dual_add_f32 v113, v181, v113 :: v_dual_fmamk_f32 v118, v163, 0xbf5db3d7, v103
	v_fmamk_f32 v117, v151, 0x3f5db3d7, v102
	v_fmac_f32_e32 v102, 0xbf5db3d7, v151
	v_fmamk_f32 v151, v164, 0x3f5db3d7, v173
	v_dual_add_f32 v115, v191, v92 :: v_dual_fmac_f32 v174, 0x3f5db3d7, v166
	v_fmac_f32_e32 v103, 0x3f5db3d7, v163
	v_dual_fmac_f32 v173, 0xbf5db3d7, v164 :: v_dual_fmamk_f32 v166, v189, 0xbf5db3d7, v178
	v_fmamk_f32 v163, v169, 0x3f5db3d7, v109
	v_dual_fmac_f32 v109, 0xbf5db3d7, v169 :: v_dual_fmamk_f32 v164, v180, 0xbf5db3d7, v110
	v_dual_fmac_f32 v110, 0x3f5db3d7, v180 :: v_dual_fmamk_f32 v165, v185, 0x3f5db3d7, v177
	v_fmac_f32_e32 v177, 0xbf5db3d7, v185
	v_fmac_f32_e32 v178, 0x3f5db3d7, v189
	v_fmamk_f32 v92, v193, 0x3f5db3d7, v94
	v_dual_fmac_f32 v94, 0xbf5db3d7, v193 :: v_dual_fmamk_f32 v93, v195, 0xbf5db3d7, v95
	v_fmac_f32_e32 v95, 0x3f5db3d7, v195
	ds_store_2addr_b64 v156, v[105:106], v[107:108] offset0:91 offset1:182
	ds_store_2addr_b64 v111, v[117:118], v[151:152] offset0:71 offset1:162
	;; [unrolled: 1-line block ×3, first 2 shown]
	ds_store_b64 v153, v[96:97]
	ds_store_b64 v153, v[163:164] offset:5096
	ds_store_b64 v153, v[109:110] offset:8736
	ds_store_b64 v156, v[113:114] offset:2184
	ds_store_b64 v153, v[165:166] offset:5824
	ds_store_b64 v153, v[177:178] offset:9464
	ds_store_b64 v156, v[115:116] offset:2912
	ds_store_b64 v153, v[92:93] offset:6552
	ds_store_b64 v153, v[94:95] offset:10192
	global_wb scope:SCOPE_SE
	s_wait_dscnt 0x0
	s_barrier_signal -1
	s_barrier_wait -1
	global_inv scope:SCOPE_SE
	s_clause 0xc
	global_load_b64 v[102:103], v[120:121], off offset:10920
	global_load_b64 v[109:110], v98, s[2:3] offset:840
	global_load_b64 v[117:118], v98, s[2:3] offset:1680
	;; [unrolled: 1-line block ×12, first 2 shown]
	ds_load_2addr_b64 v[105:108], v153 offset1:105
	s_wait_loadcnt_dscnt 0xc00
	v_dual_mul_f32 v97, v106, v103 :: v_dual_add_nc_u32 v96, 0xc00, v153
	ds_load_2addr_b64 v[113:116], v100 offset0:82 offset1:187
	ds_load_2addr_b64 v[163:166], v96 offset0:36 offset1:141
	;; [unrolled: 1-line block ×5, first 2 shown]
	ds_load_b64 v[197:198], v153 offset:10080
	v_mul_f32_e32 v111, v105, v103
	s_wait_loadcnt 0xb
	v_mul_f32_e32 v199, v108, v110
	v_mul_f32_e32 v103, v107, v110
	v_fma_f32 v110, v105, v102, -v97
	s_wait_loadcnt_dscnt 0x905
	v_dual_mul_f32 v201, v114, v118 :: v_dual_mul_f32 v202, v116, v152
	v_dual_mul_f32 v200, v115, v152 :: v_dual_mul_f32 v119, v113, v118
	s_wait_loadcnt_dscnt 0x503
	v_dual_mul_f32 v203, v164, v180 :: v_dual_mul_f32 v206, v170, v186
	v_mul_f32_e32 v152, v163, v180
	v_mul_f32_e32 v204, v166, v182
	v_dual_mul_f32 v180, v165, v182 :: v_dual_mul_f32 v205, v168, v184
	v_mul_f32_e32 v182, v167, v184
	s_wait_loadcnt_dscnt 0x402
	v_dual_mul_f32 v184, v169, v186 :: v_dual_mul_f32 v207, v172, v188
	s_wait_loadcnt 0x3
	v_mul_f32_e32 v208, v174, v190
	v_mul_f32_e32 v186, v171, v188
	s_wait_loadcnt_dscnt 0x201
	v_dual_mul_f32 v188, v173, v190 :: v_dual_mul_f32 v209, v176, v192
	v_mul_f32_e32 v190, v175, v192
	s_wait_loadcnt 0x1
	v_mul_f32_e32 v210, v178, v194
	s_wait_loadcnt_dscnt 0x0
	v_dual_mul_f32 v192, v177, v194 :: v_dual_mul_f32 v211, v198, v196
	v_dual_mul_f32 v194, v197, v196 :: v_dual_fmac_f32 v111, v106, v102
	v_fmac_f32_e32 v152, v164, v179
	v_fma_f32 v102, v107, v109, -v199
	v_fmac_f32_e32 v103, v108, v109
	v_fma_f32 v118, v113, v117, -v201
	v_fma_f32 v199, v115, v151, -v202
	v_dual_fmac_f32 v200, v116, v151 :: v_dual_fmac_f32 v119, v114, v117
	v_fmac_f32_e32 v182, v168, v183
	v_fma_f32 v151, v163, v179, -v203
	v_fma_f32 v179, v165, v181, -v204
	v_fmac_f32_e32 v180, v166, v181
	v_fma_f32 v181, v167, v183, -v205
	v_fma_f32 v183, v169, v185, -v206
	v_fmac_f32_e32 v184, v170, v185
	v_fma_f32 v185, v171, v187, -v207
	v_fmac_f32_e32 v186, v172, v187
	;; [unrolled: 2-line block ×6, first 2 shown]
	ds_store_2addr_b64 v153, v[110:111], v[102:103] offset1:105
	ds_store_2addr_b64 v100, v[118:119], v[199:200] offset0:82 offset1:187
	ds_store_2addr_b64 v96, v[151:152], v[179:180] offset0:36 offset1:141
	;; [unrolled: 1-line block ×5, first 2 shown]
	ds_store_b64 v153, v[193:194] offset:10080
	s_and_saveexec_b32 s1, vcc_lo
	s_cbranch_execz .LBB0_13
; %bb.12:
	s_wait_alu 0xfffe
	v_add_co_u32 v97, s2, s2, v98
	s_wait_alu 0xf1ff
	v_add_co_ci_u32_e64 v98, null, s3, 0, s2
	s_clause 0xc
	global_load_b64 v[102:103], v[97:98], off offset:728
	global_load_b64 v[109:110], v[97:98], off offset:1568
	;; [unrolled: 1-line block ×13, first 2 shown]
	ds_load_b64 v[105:106], v156 offset:728
	v_add_nc_u32_e32 v111, 0x2400, v153
	s_wait_loadcnt_dscnt 0xc00
	v_mul_f32_e32 v107, v106, v103
	v_mul_f32_e32 v108, v105, v103
	s_delay_alu instid0(VALU_DEP_2) | instskip(NEXT) | instid1(VALU_DEP_2)
	v_fma_f32 v107, v105, v102, -v107
	v_fmac_f32_e32 v108, v106, v102
	ds_store_b64 v156, v[107:108] offset:728
	ds_load_2addr_b64 v[105:108], v100 offset0:68 offset1:173
	ds_load_2addr_b64 v[113:116], v101 offset0:150 offset1:255
	;; [unrolled: 1-line block ×6, first 2 shown]
	s_wait_loadcnt_dscnt 0xb05
	v_mul_f32_e32 v102, v106, v110
	s_wait_loadcnt_dscnt 0x804
	v_dual_mul_f32 v103, v105, v110 :: v_dual_mul_f32 v196, v116, v180
	v_mul_f32_e32 v119, v108, v118
	v_dual_mul_f32 v110, v107, v118 :: v_dual_mul_f32 v195, v114, v152
	v_mul_f32_e32 v118, v113, v152
	s_wait_loadcnt_dscnt 0x703
	v_dual_mul_f32 v152, v115, v180 :: v_dual_mul_f32 v197, v164, v182
	s_wait_loadcnt 0x6
	v_mul_f32_e32 v198, v166, v184
	v_dual_mul_f32 v180, v163, v182 :: v_dual_fmac_f32 v103, v106, v109
	s_wait_loadcnt_dscnt 0x502
	v_dual_mul_f32 v182, v165, v184 :: v_dual_mul_f32 v199, v168, v186
	v_mul_f32_e32 v184, v167, v186
	s_wait_loadcnt_dscnt 0x301
	v_dual_mul_f32 v200, v170, v188 :: v_dual_mul_f32 v201, v172, v190
	s_wait_loadcnt_dscnt 0x100
	v_dual_mul_f32 v186, v169, v188 :: v_dual_mul_f32 v203, v176, v194
	v_mul_f32_e32 v188, v171, v190
	v_mul_f32_e32 v202, v174, v192
	;; [unrolled: 1-line block ×4, first 2 shown]
	s_wait_loadcnt 0x0
	v_mul_f32_e32 v204, v178, v98
	v_mul_f32_e32 v194, v177, v98
	v_fma_f32 v102, v105, v109, -v102
	v_fma_f32 v109, v107, v117, -v119
	v_fmac_f32_e32 v110, v108, v117
	v_fma_f32 v117, v113, v151, -v195
	v_fmac_f32_e32 v118, v114, v151
	v_fma_f32 v151, v115, v179, -v196
	v_fmac_f32_e32 v152, v116, v179
	v_fma_f32 v179, v163, v181, -v197
	v_fmac_f32_e32 v180, v164, v181
	v_fma_f32 v181, v165, v183, -v198
	v_fmac_f32_e32 v182, v166, v183
	v_fma_f32 v183, v167, v185, -v199
	v_fmac_f32_e32 v184, v168, v185
	v_fma_f32 v185, v169, v187, -v200
	v_fmac_f32_e32 v186, v170, v187
	v_fma_f32 v187, v171, v189, -v201
	v_fmac_f32_e32 v188, v172, v189
	v_fma_f32 v189, v173, v191, -v202
	v_fmac_f32_e32 v190, v174, v191
	v_fma_f32 v191, v175, v193, -v203
	v_fmac_f32_e32 v192, v176, v193
	v_fma_f32 v193, v177, v97, -v204
	v_fmac_f32_e32 v194, v178, v97
	ds_store_2addr_b64 v100, v[102:103], v[109:110] offset0:68 offset1:173
	ds_store_2addr_b64 v101, v[117:118], v[151:152] offset0:150 offset1:255
	;; [unrolled: 1-line block ×6, first 2 shown]
.LBB0_13:
	s_wait_alu 0xfffe
	s_or_b32 exec_lo, exec_lo, s1
	global_wb scope:SCOPE_SE
	s_wait_dscnt 0x0
	s_barrier_signal -1
	s_barrier_wait -1
	global_inv scope:SCOPE_SE
	ds_load_2addr_b64 v[116:119], v153 offset1:105
	ds_load_2addr_b64 v[108:111], v100 offset0:82 offset1:187
	ds_load_2addr_b64 v[100:103], v96 offset0:36 offset1:141
	;; [unrolled: 1-line block ×5, first 2 shown]
	ds_load_b64 v[151:152], v153 offset:10080
	s_and_saveexec_b32 s1, vcc_lo
	s_cbranch_execz .LBB0_15
; %bb.14:
	v_add_nc_u32_e32 v36, 0x800, v156
	v_add_nc_u32_e32 v37, 0xc00, v156
	;; [unrolled: 1-line block ×4, first 2 shown]
	ds_load_2addr_b64 v[92:95], v156 offset0:91 offset1:196
	ds_load_2addr_b64 v[84:87], v36 offset0:45 offset1:150
	v_add_nc_u32_e32 v36, 0x2000, v156
	ds_load_2addr_b64 v[88:91], v37 offset0:127 offset1:232
	ds_load_2addr_b64 v[80:83], v38 offset0:81 offset1:186
	;; [unrolled: 1-line block ×3, first 2 shown]
	ds_load_b64 v[149:150], v156 offset:10808
	ds_load_2addr_b64 v[36:39], v36 offset0:117 offset1:222
.LBB0_15:
	s_wait_alu 0xfffe
	s_or_b32 exec_lo, exec_lo, s1
	s_wait_dscnt 0x6
	v_dual_add_f32 v163, v116, v118 :: v_dual_add_f32 v164, v117, v119
	s_wait_dscnt 0x0
	v_add_f32_e32 v165, v151, v118
	v_dual_sub_f32 v166, v119, v152 :: v_dual_add_f32 v167, v152, v119
	s_delay_alu instid0(VALU_DEP_3) | instskip(SKIP_1) | instid1(VALU_DEP_3)
	v_dual_add_f32 v163, v163, v108 :: v_dual_sub_f32 v168, v118, v151
	v_add_f32_e32 v164, v164, v109
	v_mul_f32_e32 v118, 0xbeedf032, v166
	v_add_f32_e32 v192, v149, v94
	s_delay_alu instid0(VALU_DEP_4) | instskip(SKIP_3) | instid1(VALU_DEP_4)
	v_add_f32_e32 v119, v163, v110
	v_add_f32_e32 v216, v36, v86
	;; [unrolled: 1-line block ×3, first 2 shown]
	v_mul_f32_e32 v164, 0x3f62ad3f, v167
	v_dual_mul_f32 v170, 0x3f116cb1, v167 :: v_dual_add_f32 v119, v119, v100
	v_mul_f32_e32 v169, 0xbf52af12, v166
	s_delay_alu instid0(VALU_DEP_4) | instskip(NEXT) | instid1(VALU_DEP_3)
	v_dual_add_f32 v163, v163, v101 :: v_dual_mul_f32 v172, 0x3df6dbef, v167
	v_fmamk_f32 v177, v168, 0x3f52af12, v170
	s_delay_alu instid0(VALU_DEP_4) | instskip(SKIP_3) | instid1(VALU_DEP_4)
	v_dual_add_f32 v119, v119, v102 :: v_dual_fmamk_f32 v174, v165, 0x3f62ad3f, v118
	v_fmac_f32_e32 v170, 0xbf52af12, v168
	v_fma_f32 v118, 0x3f62ad3f, v165, -v118
	v_add_f32_e32 v163, v163, v103
	v_dual_add_f32 v119, v119, v96 :: v_dual_fmamk_f32 v176, v165, 0x3f116cb1, v169
	v_mul_f32_e32 v171, 0xbf7e222b, v166
	v_fma_f32 v169, 0x3f116cb1, v165, -v169
	global_wb scope:SCOPE_SE
	v_add_f32_e32 v119, v119, v98
	s_barrier_signal -1
	s_barrier_wait -1
	global_inv scope:SCOPE_SE
	v_dual_add_f32 v180, v116, v118 :: v_dual_add_f32 v119, v119, v104
	v_add_f32_e32 v174, v116, v174
	v_add_f32_e32 v188, v114, v108
	;; [unrolled: 1-line block ×3, first 2 shown]
	s_delay_alu instid0(VALU_DEP_4) | instskip(SKIP_2) | instid1(VALU_DEP_3)
	v_dual_mul_f32 v182, 0xbf3f9e67, v167 :: v_dual_add_f32 v119, v119, v106
	v_dual_mul_f32 v173, 0xbf6f5d39, v166 :: v_dual_sub_f32 v186, v109, v115
	v_sub_f32_e32 v108, v108, v114
	v_fmamk_f32 v184, v168, 0x3f29c268, v182
	s_delay_alu instid0(VALU_DEP_4) | instskip(SKIP_1) | instid1(VALU_DEP_3)
	v_add_f32_e32 v118, v119, v112
	v_dual_add_f32 v109, v115, v109 :: v_dual_fmac_f32 v182, 0xbf29c268, v168
	v_dual_add_f32 v193, v150, v95 :: v_dual_add_f32 v184, v117, v184
	s_delay_alu instid0(VALU_DEP_3) | instskip(SKIP_3) | instid1(VALU_DEP_4)
	v_dual_add_f32 v118, v118, v114 :: v_dual_fmamk_f32 v175, v168, 0x3eedf032, v164
	v_fmac_f32_e32 v164, 0xbeedf032, v168
	v_fmamk_f32 v179, v168, 0x3f7e222b, v172
	v_fmac_f32_e32 v172, 0xbf7e222b, v168
	v_dual_add_f32 v118, v118, v151 :: v_dual_add_f32 v163, v163, v97
	v_fmamk_f32 v178, v165, 0x3df6dbef, v171
	v_fmamk_f32 v151, v165, 0xbeb58ec6, v173
	s_delay_alu instid0(VALU_DEP_4) | instskip(SKIP_4) | instid1(VALU_DEP_3)
	v_add_f32_e32 v172, v117, v172
	v_fma_f32 v171, 0x3df6dbef, v165, -v171
	v_add_f32_e32 v163, v163, v99
	v_fma_f32 v173, 0xbeb58ec6, v165, -v173
	v_dual_mul_f32 v114, 0x3f116cb1, v109 :: v_dual_add_f32 v151, v116, v151
	v_dual_add_f32 v182, v117, v182 :: v_dual_add_f32 v163, v163, v105
	v_add_f32_e32 v171, v116, v171
	s_delay_alu instid0(VALU_DEP_4)
	v_add_f32_e32 v173, v116, v173
	v_add_f32_e32 v217, v37, v87
	v_sub_f32_e32 v203, v89, v43
	v_add_f32_e32 v163, v163, v107
	v_add_f32_e32 v227, v40, v90
	v_dual_sub_f32 v209, v90, v40 :: v_dual_add_f32 v228, v41, v91
	s_delay_alu instid0(VALU_DEP_3)
	v_dual_mul_f32 v208, 0xbf7e222b, v203 :: v_dual_add_f32 v119, v163, v113
	v_add_f32_e32 v163, v117, v164
	v_add_f32_e32 v164, v116, v176
	v_dual_add_f32 v176, v117, v177 :: v_dual_add_f32 v177, v116, v178
	v_mul_f32_e32 v178, 0xbeb58ec6, v167
	v_add_f32_e32 v119, v119, v115
	v_mul_f32_e32 v167, 0xbf788fa5, v167
	v_add_f32_e32 v175, v117, v175
	v_mul_f32_e32 v189, 0xbf52af12, v186
	s_delay_alu instid0(VALU_DEP_4)
	v_dual_mul_f32 v214, 0x3e750f2a, v203 :: v_dual_add_f32 v119, v119, v152
	v_dual_add_f32 v152, v117, v179 :: v_dual_mul_f32 v179, 0xbf29c268, v166
	v_mul_f32_e32 v166, 0xbe750f2a, v166
	v_fmamk_f32 v187, v168, 0x3e750f2a, v167
	v_fmac_f32_e32 v167, 0xbe750f2a, v168
	v_fmamk_f32 v181, v168, 0x3f6f5d39, v178
	v_fmamk_f32 v183, v165, 0xbf3f9e67, v179
	v_fmac_f32_e32 v178, 0xbf6f5d39, v168
	v_fma_f32 v179, 0xbf3f9e67, v165, -v179
	v_fmamk_f32 v185, v165, 0xbf788fa5, v166
	v_fma_f32 v115, 0xbf788fa5, v165, -v166
	v_add_f32_e32 v183, v116, v183
	v_dual_add_f32 v169, v116, v169 :: v_dual_add_f32 v178, v117, v178
	v_dual_add_f32 v179, v116, v179 :: v_dual_mul_f32 v168, 0xbeb58ec6, v109
	v_add_f32_e32 v185, v116, v185
	v_add_f32_e32 v115, v116, v115
	;; [unrolled: 1-line block ×3, first 2 shown]
	v_dual_add_f32 v181, v117, v181 :: v_dual_fmamk_f32 v166, v108, 0x3f52af12, v114
	v_dual_fmac_f32 v114, 0xbf52af12, v108 :: v_dual_add_f32 v207, v39, v85
	v_dual_mul_f32 v212, 0xbf52af12, v209 :: v_dual_sub_f32 v251, v80, v82
	s_delay_alu instid0(VALU_DEP_3) | instskip(NEXT) | instid1(VALU_DEP_3)
	v_add_f32_e32 v166, v166, v175
	v_dual_add_f32 v114, v114, v163 :: v_dual_fmamk_f32 v163, v108, 0x3f6f5d39, v168
	v_fmac_f32_e32 v168, 0xbf6f5d39, v108
	v_mul_f32_e32 v175, 0xbf788fa5, v109
	v_add_f32_e32 v187, v117, v187
	v_mul_f32_e32 v199, 0x3eedf032, v203
	s_delay_alu instid0(VALU_DEP_4) | instskip(NEXT) | instid1(VALU_DEP_4)
	v_dual_add_f32 v221, v42, v88 :: v_dual_add_f32 v168, v168, v170
	v_fmamk_f32 v170, v108, 0x3e750f2a, v175
	v_fmamk_f32 v165, v188, 0x3f116cb1, v189
	v_fmac_f32_e32 v175, 0xbe750f2a, v108
	v_add_f32_e32 v223, v43, v89
	v_add_f32_e32 v233, v82, v80
	s_delay_alu instid0(VALU_DEP_4) | instskip(NEXT) | instid1(VALU_DEP_4)
	v_dual_add_f32 v152, v170, v152 :: v_dual_add_f32 v117, v165, v174
	v_dual_mul_f32 v165, 0xbf6f5d39, v186 :: v_dual_add_f32 v172, v175, v172
	v_mul_f32_e32 v170, 0xbf3f9e67, v109
	v_mul_f32_e32 v229, 0x3eedf032, v209
	s_delay_alu instid0(VALU_DEP_3) | instskip(SKIP_1) | instid1(VALU_DEP_4)
	v_fmamk_f32 v174, v188, 0xbeb58ec6, v165
	v_fma_f32 v165, 0xbeb58ec6, v188, -v165
	v_fmamk_f32 v175, v108, 0xbf29c268, v170
	v_fmac_f32_e32 v170, 0x3f29c268, v108
	s_delay_alu instid0(VALU_DEP_4) | instskip(NEXT) | instid1(VALU_DEP_4)
	v_add_f32_e32 v164, v174, v164
	v_dual_mul_f32 v174, 0xbe750f2a, v186 :: v_dual_add_f32 v165, v165, v169
	s_delay_alu instid0(VALU_DEP_3) | instskip(NEXT) | instid1(VALU_DEP_2)
	v_dual_add_f32 v170, v170, v178 :: v_dual_add_f32 v163, v163, v176
	v_fmamk_f32 v176, v188, 0xbf788fa5, v174
	v_fma_f32 v174, 0xbf788fa5, v188, -v174
	s_delay_alu instid0(VALU_DEP_2) | instskip(SKIP_1) | instid1(VALU_DEP_3)
	v_add_f32_e32 v176, v176, v177
	v_fma_f32 v167, 0x3f116cb1, v188, -v189
	v_dual_add_f32 v171, v174, v171 :: v_dual_mul_f32 v174, 0x3f7e222b, v186
	s_delay_alu instid0(VALU_DEP_1) | instskip(SKIP_1) | instid1(VALU_DEP_2)
	v_dual_add_f32 v167, v167, v180 :: v_dual_fmamk_f32 v180, v188, 0x3df6dbef, v174
	v_fma_f32 v174, 0x3df6dbef, v188, -v174
	v_dual_mul_f32 v169, 0x3f29c268, v186 :: v_dual_add_f32 v178, v180, v183
	s_delay_alu instid0(VALU_DEP_1) | instskip(SKIP_3) | instid1(VALU_DEP_4)
	v_dual_add_f32 v174, v174, v179 :: v_dual_fmamk_f32 v177, v188, 0xbf3f9e67, v169
	v_fma_f32 v169, 0xbf3f9e67, v188, -v169
	v_dual_mul_f32 v180, 0x3eedf032, v186 :: v_dual_sub_f32 v179, v111, v113
	v_add_f32_e32 v111, v113, v111
	v_add_f32_e32 v151, v177, v151
	v_mul_f32_e32 v177, 0x3df6dbef, v109
	v_add_f32_e32 v169, v169, v173
	v_mul_f32_e32 v109, 0x3f62ad3f, v109
	v_fma_f32 v113, 0x3f62ad3f, v188, -v180
	v_add_f32_e32 v175, v175, v181
	v_fmamk_f32 v173, v108, 0xbf7e222b, v177
	v_fmac_f32_e32 v177, 0x3f7e222b, v108
	v_fmamk_f32 v181, v188, 0x3f62ad3f, v180
	v_fmamk_f32 v183, v108, 0xbeedf032, v109
	v_mul_f32_e32 v180, 0xbf788fa5, v111
	v_fmac_f32_e32 v109, 0x3eedf032, v108
	v_add_f32_e32 v113, v113, v115
	v_mul_f32_e32 v115, 0xbe750f2a, v179
	v_add_f32_e32 v177, v177, v182
	v_add_f32_e32 v182, v112, v110
	v_sub_f32_e32 v110, v110, v112
	v_dual_mul_f32 v112, 0x3df6dbef, v111 :: v_dual_add_f32 v109, v109, v116
	s_delay_alu instid0(VALU_DEP_1) | instskip(SKIP_2) | instid1(VALU_DEP_3)
	v_fmamk_f32 v116, v110, 0x3f7e222b, v112
	v_dual_fmac_f32 v112, 0xbf7e222b, v110 :: v_dual_add_f32 v173, v173, v184
	v_mul_f32_e32 v184, 0xbf7e222b, v179
	v_add_f32_e32 v116, v116, v166
	v_mul_f32_e32 v166, 0x3f6f5d39, v179
	s_delay_alu instid0(VALU_DEP_4) | instskip(NEXT) | instid1(VALU_DEP_4)
	v_add_f32_e32 v112, v112, v114
	v_fmamk_f32 v108, v182, 0x3df6dbef, v184
	v_fmamk_f32 v114, v110, 0x3e750f2a, v180
	v_fmac_f32_e32 v180, 0xbe750f2a, v110
	s_delay_alu instid0(VALU_DEP_3) | instskip(SKIP_4) | instid1(VALU_DEP_4)
	v_add_f32_e32 v108, v108, v117
	v_fma_f32 v117, 0x3df6dbef, v182, -v184
	v_fmamk_f32 v184, v182, 0xbf788fa5, v115
	v_fma_f32 v115, 0xbf788fa5, v182, -v115
	v_add_f32_e32 v114, v114, v163
	v_add_f32_e32 v117, v117, v167
	v_fmamk_f32 v167, v182, 0xbeb58ec6, v166
	v_fma_f32 v166, 0xbeb58ec6, v182, -v166
	v_add_f32_e32 v115, v115, v165
	v_dual_add_f32 v165, v180, v168 :: v_dual_mul_f32 v168, 0x3eedf032, v179
	s_delay_alu instid0(VALU_DEP_3) | instskip(SKIP_2) | instid1(VALU_DEP_4)
	v_dual_add_f32 v167, v167, v176 :: v_dual_add_f32 v166, v166, v171
	v_add_f32_e32 v183, v183, v187
	v_mul_f32_e32 v171, 0xbf52af12, v179
	v_fmamk_f32 v176, v182, 0x3f62ad3f, v168
	v_fma_f32 v168, 0x3f62ad3f, v182, -v168
	v_dual_mul_f32 v163, 0xbeb58ec6, v111 :: v_dual_add_f32 v164, v184, v164
	s_delay_alu instid0(VALU_DEP_3) | instskip(SKIP_1) | instid1(VALU_DEP_4)
	v_dual_fmamk_f32 v184, v182, 0x3f116cb1, v171 :: v_dual_add_f32 v151, v176, v151
	v_mul_f32_e32 v176, 0x3f116cb1, v111
	v_add_f32_e32 v168, v168, v169
	s_delay_alu instid0(VALU_DEP_4) | instskip(SKIP_2) | instid1(VALU_DEP_3)
	v_fmamk_f32 v180, v110, 0xbf6f5d39, v163
	v_fmac_f32_e32 v163, 0x3f6f5d39, v110
	v_fma_f32 v171, 0x3f116cb1, v182, -v171
	v_dual_fmamk_f32 v169, v110, 0x3f52af12, v176 :: v_dual_add_f32 v152, v180, v152
	v_dual_mul_f32 v180, 0x3f62ad3f, v111 :: v_dual_add_f32 v181, v181, v185
	v_fmac_f32_e32 v176, 0xbf52af12, v110
	v_mul_f32_e32 v111, 0xbf3f9e67, v111
	s_delay_alu instid0(VALU_DEP_2)
	v_dual_mul_f32 v185, 0x3f62ad3f, v207 :: v_dual_add_f32 v176, v176, v177
	v_add_f32_e32 v177, v106, v100
	v_dual_add_f32 v171, v171, v174 :: v_dual_sub_f32 v174, v101, v107
	v_dual_add_f32 v163, v163, v172 :: v_dual_fmamk_f32 v172, v110, 0xbeedf032, v180
	v_dual_fmac_f32 v180, 0x3eedf032, v110 :: v_dual_add_f32 v169, v169, v173
	v_dual_add_f32 v101, v107, v101 :: v_dual_sub_f32 v100, v100, v106
	s_delay_alu instid0(VALU_DEP_3) | instskip(NEXT) | instid1(VALU_DEP_3)
	v_add_f32_e32 v172, v172, v175
	v_add_f32_e32 v170, v180, v170
	v_dual_add_f32 v175, v184, v178 :: v_dual_mul_f32 v178, 0xbf29c268, v179
	v_mul_f32_e32 v180, 0xbf6f5d39, v174
	v_fmamk_f32 v179, v110, 0x3f29c268, v111
	v_fmac_f32_e32 v111, 0xbf29c268, v110
	v_mul_f32_e32 v106, 0xbeb58ec6, v101
	v_fma_f32 v107, 0xbf3f9e67, v182, -v178
	v_fmamk_f32 v110, v177, 0xbeb58ec6, v180
	s_delay_alu instid0(VALU_DEP_1) | instskip(NEXT) | instid1(VALU_DEP_3)
	v_add_f32_e32 v108, v110, v108
	v_dual_mul_f32 v110, 0x3f29c268, v174 :: v_dual_add_f32 v107, v107, v113
	v_fma_f32 v113, 0xbeb58ec6, v177, -v180
	v_dual_fmamk_f32 v173, v182, 0xbf3f9e67, v178 :: v_dual_mul_f32 v178, 0xbf3f9e67, v101
	v_add_f32_e32 v179, v179, v183
	s_delay_alu instid0(VALU_DEP_4) | instskip(NEXT) | instid1(VALU_DEP_4)
	v_dual_add_f32 v109, v111, v109 :: v_dual_fmamk_f32 v180, v177, 0xbf3f9e67, v110
	v_add_f32_e32 v113, v113, v117
	v_mul_f32_e32 v117, 0x3eedf032, v174
	v_fma_f32 v110, 0xbf3f9e67, v177, -v110
	v_fmamk_f32 v111, v100, 0x3f6f5d39, v106
	v_dual_fmac_f32 v106, 0xbf6f5d39, v100 :: v_dual_add_f32 v173, v173, v181
	s_delay_alu instid0(VALU_DEP_3) | instskip(SKIP_1) | instid1(VALU_DEP_3)
	v_dual_sub_f32 v181, v84, v38 :: v_dual_add_f32 v110, v110, v115
	v_add_f32_e32 v204, v38, v84
	v_add_f32_e32 v106, v106, v112
	v_fmamk_f32 v112, v100, 0xbf29c268, v178
	s_delay_alu instid0(VALU_DEP_4)
	v_mul_f32_e32 v189, 0x3f29c268, v181
	v_add_f32_e32 v111, v111, v116
	v_add_f32_e32 v116, v180, v164
	v_fmamk_f32 v164, v177, 0x3f62ad3f, v117
	v_dual_add_f32 v112, v112, v114 :: v_dual_mul_f32 v197, 0x3f7e222b, v181
	v_fmamk_f32 v187, v181, 0xbeedf032, v185
	s_delay_alu instid0(VALU_DEP_3) | instskip(SKIP_1) | instid1(VALU_DEP_1)
	v_dual_fmac_f32 v185, 0x3eedf032, v181 :: v_dual_add_f32 v164, v164, v167
	v_fma_f32 v117, 0x3f62ad3f, v177, -v117
	v_dual_fmac_f32 v178, 0x3f29c268, v100 :: v_dual_add_f32 v117, v117, v166
	s_delay_alu instid0(VALU_DEP_1) | instskip(SKIP_1) | instid1(VALU_DEP_1)
	v_add_f32_e32 v115, v178, v165
	v_mul_f32_e32 v165, 0xbf7e222b, v174
	v_fmamk_f32 v167, v177, 0x3df6dbef, v165
	s_delay_alu instid0(VALU_DEP_1) | instskip(NEXT) | instid1(VALU_DEP_1)
	v_dual_mul_f32 v114, 0x3f62ad3f, v101 :: v_dual_add_f32 v151, v167, v151
	v_fmamk_f32 v178, v100, 0xbeedf032, v114
	v_fmac_f32_e32 v114, 0x3eedf032, v100
	s_delay_alu instid0(VALU_DEP_2) | instskip(SKIP_1) | instid1(VALU_DEP_3)
	v_add_f32_e32 v152, v178, v152
	v_mul_f32_e32 v178, 0x3df6dbef, v101
	v_dual_add_f32 v114, v114, v163 :: v_dual_mul_f32 v163, 0x3e750f2a, v174
	v_fma_f32 v165, 0x3df6dbef, v177, -v165
	v_mul_f32_e32 v167, 0xbf788fa5, v101
	s_delay_alu instid0(VALU_DEP_4)
	v_fmamk_f32 v166, v100, 0x3f7e222b, v178
	v_mul_f32_e32 v174, 0x3f52af12, v174
	v_fmamk_f32 v180, v177, 0xbf788fa5, v163
	v_fma_f32 v163, 0xbf788fa5, v177, -v163
	v_dual_add_f32 v165, v165, v168 :: v_dual_fmamk_f32 v168, v100, 0xbe750f2a, v167
	v_fmac_f32_e32 v167, 0x3e750f2a, v100
	v_mul_f32_e32 v101, 0x3f116cb1, v101
	s_delay_alu instid0(VALU_DEP_4) | instskip(SKIP_1) | instid1(VALU_DEP_4)
	v_add_f32_e32 v163, v163, v171
	v_dual_sub_f32 v171, v103, v105 :: v_dual_add_f32 v166, v166, v172
	v_dual_add_f32 v172, v180, v175 :: v_dual_add_f32 v167, v167, v176
	v_dual_add_f32 v168, v168, v169 :: v_dual_fmamk_f32 v169, v177, 0x3f116cb1, v174
	v_fmac_f32_e32 v178, 0xbf7e222b, v100
	v_fmamk_f32 v175, v100, 0xbf52af12, v101
	v_mul_f32_e32 v176, 0xbf29c268, v171
	v_add_f32_e32 v103, v105, v103
	s_delay_alu instid0(VALU_DEP_4)
	v_dual_add_f32 v169, v169, v173 :: v_dual_add_f32 v170, v178, v170
	v_add_f32_e32 v173, v104, v102
	v_add_f32_e32 v175, v175, v179
	v_fma_f32 v105, 0x3f116cb1, v177, -v174
	v_fmac_f32_e32 v101, 0x3f52af12, v100
	v_sub_f32_e32 v102, v102, v104
	v_fmamk_f32 v100, v173, 0xbf3f9e67, v176
	v_mul_f32_e32 v104, 0xbf3f9e67, v103
	v_add_f32_e32 v105, v105, v107
	v_add_f32_e32 v177, v99, v97
	s_delay_alu instid0(VALU_DEP_4) | instskip(NEXT) | instid1(VALU_DEP_4)
	v_dual_mul_f32 v179, 0xbe750f2a, v181 :: v_dual_add_f32 v100, v100, v108
	v_fmamk_f32 v108, v102, 0x3f29c268, v104
	s_delay_alu instid0(VALU_DEP_2) | instskip(NEXT) | instid1(VALU_DEP_2)
	v_fma_f32 v183, 0xbf788fa5, v207, -v179
	v_dual_add_f32 v108, v108, v111 :: v_dual_add_f32 v101, v101, v109
	v_fmac_f32_e32 v104, 0xbf29c268, v102
	v_mul_f32_e32 v107, 0x3f7e222b, v171
	v_fma_f32 v109, 0xbf3f9e67, v173, -v176
	s_delay_alu instid0(VALU_DEP_3) | instskip(NEXT) | instid1(VALU_DEP_3)
	v_add_f32_e32 v104, v104, v106
	v_fmamk_f32 v176, v173, 0x3df6dbef, v107
	v_fma_f32 v107, 0x3df6dbef, v173, -v107
	s_delay_alu instid0(VALU_DEP_4) | instskip(NEXT) | instid1(VALU_DEP_3)
	v_dual_mul_f32 v174, 0x3df6dbef, v103 :: v_dual_add_f32 v109, v109, v113
	v_add_f32_e32 v111, v176, v116
	s_delay_alu instid0(VALU_DEP_2) | instskip(SKIP_2) | instid1(VALU_DEP_3)
	v_dual_add_f32 v107, v107, v110 :: v_dual_fmamk_f32 v106, v102, 0xbf7e222b, v174
	v_mul_f32_e32 v113, 0xbf52af12, v171
	v_fmac_f32_e32 v174, 0x3f7e222b, v102
	v_add_f32_e32 v106, v106, v112
	s_delay_alu instid0(VALU_DEP_3) | instskip(NEXT) | instid1(VALU_DEP_3)
	v_fmamk_f32 v116, v173, 0x3f116cb1, v113
	v_add_f32_e32 v110, v174, v115
	v_mul_f32_e32 v115, 0x3e750f2a, v171
	v_fma_f32 v113, 0x3f116cb1, v173, -v113
	v_mul_f32_e32 v112, 0x3f116cb1, v103
	v_add_f32_e32 v164, v116, v164
	s_delay_alu instid0(VALU_DEP_4) | instskip(NEXT) | instid1(VALU_DEP_4)
	v_fmamk_f32 v116, v173, 0xbf788fa5, v115
	v_add_f32_e32 v113, v113, v117
	v_fma_f32 v115, 0xbf788fa5, v173, -v115
	v_mul_f32_e32 v117, 0x3f62ad3f, v103
	s_delay_alu instid0(VALU_DEP_2) | instskip(NEXT) | instid1(VALU_DEP_2)
	v_dual_add_f32 v176, v116, v151 :: v_dual_add_f32 v165, v115, v165
	v_fmamk_f32 v115, v102, 0xbeedf032, v117
	v_fmac_f32_e32 v117, 0x3eedf032, v102
	v_fmamk_f32 v174, v102, 0x3f52af12, v112
	s_delay_alu instid0(VALU_DEP_2) | instskip(NEXT) | instid1(VALU_DEP_2)
	v_dual_add_f32 v168, v115, v168 :: v_dual_add_f32 v167, v117, v167
	v_add_f32_e32 v152, v174, v152
	v_mul_f32_e32 v174, 0xbf788fa5, v103
	v_mul_f32_e32 v103, 0xbeb58ec6, v103
	s_delay_alu instid0(VALU_DEP_2) | instskip(NEXT) | instid1(VALU_DEP_1)
	v_fmamk_f32 v116, v102, 0xbe750f2a, v174
	v_add_f32_e32 v166, v116, v166
	v_mul_f32_e32 v116, 0xbf6f5d39, v171
	s_delay_alu instid0(VALU_DEP_1) | instskip(NEXT) | instid1(VALU_DEP_1)
	v_fmamk_f32 v115, v173, 0xbeb58ec6, v116
	v_dual_add_f32 v169, v115, v169 :: v_dual_fmac_f32 v112, 0xbf52af12, v102
	s_delay_alu instid0(VALU_DEP_1) | instskip(SKIP_3) | instid1(VALU_DEP_3)
	v_dual_mul_f32 v115, 0xbf788fa5, v177 :: v_dual_add_f32 v112, v112, v114
	v_mul_f32_e32 v114, 0x3eedf032, v171
	v_sub_f32_e32 v171, v97, v99
	v_fma_f32 v97, 0xbeb58ec6, v173, -v116
	v_fmamk_f32 v151, v173, 0x3f62ad3f, v114
	s_delay_alu instid0(VALU_DEP_2) | instskip(NEXT) | instid1(VALU_DEP_2)
	v_dual_add_f32 v105, v97, v105 :: v_dual_fmac_f32 v174, 0x3e750f2a, v102
	v_dual_add_f32 v172, v151, v172 :: v_dual_fmamk_f32 v151, v102, 0x3f6f5d39, v103
	v_fmac_f32_e32 v103, 0xbf6f5d39, v102
	s_delay_alu instid0(VALU_DEP_3) | instskip(SKIP_1) | instid1(VALU_DEP_4)
	v_add_f32_e32 v170, v174, v170
	v_sub_f32_e32 v102, v96, v98
	v_dual_add_f32 v174, v151, v175 :: v_dual_mul_f32 v151, 0x3f62ad3f, v177
	s_delay_alu instid0(VALU_DEP_4) | instskip(SKIP_4) | instid1(VALU_DEP_4)
	v_add_f32_e32 v101, v103, v101
	v_fma_f32 v114, 0x3f62ad3f, v173, -v114
	v_add_f32_e32 v175, v98, v96
	v_mul_f32_e32 v103, 0x3eedf032, v171
	v_mul_f32_e32 v173, 0xbf6f5d39, v181
	v_add_f32_e32 v163, v114, v163
	v_mul_f32_e32 v114, 0xbe750f2a, v171
	s_delay_alu instid0(VALU_DEP_3) | instskip(NEXT) | instid1(VALU_DEP_2)
	v_fma_f32 v182, 0xbeb58ec6, v207, -v173
	v_fmamk_f32 v96, v175, 0xbf788fa5, v114
	s_delay_alu instid0(VALU_DEP_1) | instskip(SKIP_2) | instid1(VALU_DEP_2)
	v_add_f32_e32 v98, v96, v100
	v_fmamk_f32 v100, v175, 0x3f62ad3f, v103
	v_fma_f32 v103, 0x3f62ad3f, v175, -v103
	v_add_f32_e32 v116, v100, v111
	v_fmamk_f32 v100, v102, 0xbeedf032, v151
	v_fmac_f32_e32 v151, 0x3eedf032, v102
	v_fmamk_f32 v96, v102, 0x3e750f2a, v115
	v_fmac_f32_e32 v115, 0xbe750f2a, v102
	s_delay_alu instid0(VALU_DEP_4) | instskip(SKIP_1) | instid1(VALU_DEP_4)
	v_add_f32_e32 v117, v100, v106
	v_fma_f32 v97, 0xbf788fa5, v175, -v114
	v_dual_add_f32 v99, v96, v108 :: v_dual_mul_f32 v108, 0xbf3f9e67, v177
	v_mul_f32_e32 v106, 0x3f52af12, v171
	s_delay_alu instid0(VALU_DEP_3) | instskip(SKIP_1) | instid1(VALU_DEP_1)
	v_dual_add_f32 v96, v97, v109 :: v_dual_add_f32 v97, v115, v104
	v_dual_mul_f32 v104, 0xbf29c268, v171 :: v_dual_add_f32 v115, v151, v110
	v_fmamk_f32 v100, v175, 0xbf3f9e67, v104
	s_delay_alu instid0(VALU_DEP_1) | instskip(SKIP_2) | instid1(VALU_DEP_2)
	v_add_f32_e32 v235, v100, v164
	v_fma_f32 v100, 0xbf3f9e67, v175, -v104
	v_mul_f32_e32 v104, 0x3f116cb1, v177
	v_dual_add_f32 v114, v103, v107 :: v_dual_add_f32 v151, v100, v113
	v_mul_f32_e32 v100, 0xbf6f5d39, v171
	s_delay_alu instid0(VALU_DEP_1) | instskip(SKIP_1) | instid1(VALU_DEP_2)
	v_fmamk_f32 v107, v175, 0xbeb58ec6, v100
	v_fma_f32 v100, 0xbeb58ec6, v175, -v100
	v_add_f32_e32 v241, v107, v172
	v_fmamk_f32 v103, v102, 0x3f29c268, v108
	s_delay_alu instid0(VALU_DEP_3) | instskip(SKIP_2) | instid1(VALU_DEP_4)
	v_dual_fmac_f32 v108, 0xbf29c268, v102 :: v_dual_add_f32 v243, v100, v163
	v_sub_f32_e32 v100, v95, v150
	v_sub_f32_e32 v172, v85, v39
	v_add_f32_e32 v236, v103, v152
	v_fmamk_f32 v103, v175, 0x3f116cb1, v106
	s_delay_alu instid0(VALU_DEP_1) | instskip(SKIP_2) | instid1(VALU_DEP_2)
	v_add_f32_e32 v237, v103, v176
	v_fmamk_f32 v103, v102, 0xbf52af12, v104
	v_fmac_f32_e32 v104, 0x3f52af12, v102
	v_add_f32_e32 v238, v103, v166
	s_delay_alu instid0(VALU_DEP_2)
	v_add_f32_e32 v240, v104, v170
	v_mul_f32_e32 v104, 0x3f7e222b, v171
	v_add_f32_e32 v152, v108, v112
	v_mul_f32_e32 v108, 0xbeb58ec6, v177
	v_mul_f32_e32 v112, 0xbf788fa5, v193
	;; [unrolled: 1-line block ×3, first 2 shown]
	s_delay_alu instid0(VALU_DEP_3) | instskip(NEXT) | instid1(VALU_DEP_1)
	v_fmamk_f32 v103, v102, 0x3f6f5d39, v108
	v_add_f32_e32 v242, v103, v168
	v_fmamk_f32 v103, v175, 0x3df6dbef, v104
	v_fma_f32 v104, 0x3df6dbef, v175, -v104
	s_delay_alu instid0(VALU_DEP_2) | instskip(SKIP_2) | instid1(VALU_DEP_4)
	v_add_f32_e32 v245, v103, v169
	v_fma_f32 v106, 0x3f116cb1, v175, -v106
	v_sub_f32_e32 v103, v94, v149
	v_add_f32_e32 v247, v104, v105
	s_delay_alu instid0(VALU_DEP_3) | instskip(SKIP_1) | instid1(VALU_DEP_4)
	v_add_f32_e32 v239, v106, v165
	v_mul_f32_e32 v106, 0x3df6dbef, v177
	v_mul_f32_e32 v171, 0xbf7e222b, v103
	v_dual_fmac_f32 v108, 0xbf6f5d39, v102 :: v_dual_mul_f32 v175, 0xbf6f5d39, v100
	v_mul_f32_e32 v178, 0xbf6f5d39, v103
	s_delay_alu instid0(VALU_DEP_4) | instskip(SKIP_1) | instid1(VALU_DEP_4)
	v_fmamk_f32 v107, v102, 0xbf7e222b, v106
	v_mul_f32_e32 v186, 0xbf29c268, v103
	v_dual_add_f32 v244, v108, v167 :: v_dual_mul_f32 v165, 0xbf52af12, v100
	v_mul_f32_e32 v167, 0xbf52af12, v103
	v_fma_f32 v109, 0xbeb58ec6, v193, -v178
	v_add_f32_e32 v246, v107, v174
	v_fma_f32 v107, 0x3df6dbef, v193, -v171
	v_mul_f32_e32 v163, 0xbeedf032, v100
	v_fma_f32 v105, 0x3f116cb1, v193, -v167
	v_dual_add_f32 v109, v93, v109 :: v_dual_mul_f32 v164, 0xbeedf032, v103
	s_delay_alu instid0(VALU_DEP_4) | instskip(NEXT) | instid1(VALU_DEP_3)
	v_dual_add_f32 v107, v93, v107 :: v_dual_mul_f32 v180, 0xbf29c268, v100
	v_dual_add_f32 v105, v93, v105 :: v_dual_mul_f32 v170, 0xbf7e222b, v100
	v_mul_f32_e32 v100, 0xbe750f2a, v100
	v_fma_f32 v111, 0xbf3f9e67, v193, -v186
	v_fmac_f32_e32 v106, 0x3f7e222b, v102
	v_fmamk_f32 v168, v103, 0x3e750f2a, v112
	v_fmac_f32_e32 v112, 0xbe750f2a, v103
	v_fmamk_f32 v113, v192, 0xbf788fa5, v100
	s_delay_alu instid0(VALU_DEP_4) | instskip(SKIP_2) | instid1(VALU_DEP_4)
	v_dual_add_f32 v111, v93, v111 :: v_dual_add_f32 v248, v106, v101
	v_fma_f32 v101, 0x3f62ad3f, v193, -v164
	v_fmamk_f32 v103, v204, 0x3f116cb1, v166
	v_add_f32_e32 v113, v92, v113
	v_fmamk_f32 v102, v192, 0x3f62ad3f, v163
	v_mul_f32_e32 v184, 0x3f29c268, v172
	v_add_f32_e32 v176, v93, v168
	v_mul_f32_e32 v168, 0xbf52af12, v181
	s_delay_alu instid0(VALU_DEP_4) | instskip(SKIP_2) | instid1(VALU_DEP_3)
	v_dual_add_f32 v101, v93, v101 :: v_dual_add_f32 v102, v92, v102
	v_mul_f32_e32 v169, 0xbf6f5d39, v172
	v_dual_fmamk_f32 v108, v192, 0xbeb58ec6, v175 :: v_dual_add_f32 v105, v182, v105
	v_dual_mul_f32 v177, 0xbe750f2a, v172 :: v_dual_add_f32 v102, v103, v102
	v_fma_f32 v103, 0x3f116cb1, v207, -v168
	v_fmamk_f32 v104, v192, 0x3f116cb1, v165
	s_delay_alu instid0(VALU_DEP_4) | instskip(SKIP_2) | instid1(VALU_DEP_4)
	v_add_f32_e32 v108, v92, v108
	v_fmamk_f32 v106, v192, 0x3df6dbef, v170
	v_fma_f32 v100, 0xbf788fa5, v192, -v100
	v_dual_add_f32 v101, v103, v101 :: v_dual_add_f32 v104, v92, v104
	v_fmamk_f32 v103, v204, 0xbf788fa5, v177
	s_delay_alu instid0(VALU_DEP_4) | instskip(NEXT) | instid1(VALU_DEP_4)
	v_add_f32_e32 v106, v92, v106
	v_add_f32_e32 v100, v92, v100
	v_mul_f32_e32 v182, 0x3eedf032, v172
	v_mul_f32_e32 v190, 0x3f7e222b, v172
	v_fma_f32 v172, 0xbf3f9e67, v207, -v189
	v_add_f32_e32 v103, v103, v106
	v_dual_add_f32 v106, v183, v107 :: v_dual_fmamk_f32 v107, v204, 0xbf3f9e67, v184
	v_fmamk_f32 v183, v204, 0x3f62ad3f, v182
	s_delay_alu instid0(VALU_DEP_4) | instskip(SKIP_1) | instid1(VALU_DEP_4)
	v_add_f32_e32 v109, v172, v109
	v_dual_fmamk_f32 v110, v192, 0xbf3f9e67, v180 :: v_dual_add_f32 v191, v187, v176
	v_add_f32_e32 v107, v107, v108
	v_fma_f32 v108, 0x3df6dbef, v207, -v197
	v_add_f32_e32 v112, v93, v112
	ds_store_2addr_b64 v161, v[118:119], v[98:99] offset1:1
	ds_store_2addr_b64 v161, v[116:117], v[235:236] offset0:2 offset1:3
	ds_store_2addr_b64 v161, v[237:238], v[241:242] offset0:4 offset1:5
	;; [unrolled: 1-line block ×5, first 2 shown]
	ds_store_b64 v161, v[96:97] offset:96
	v_dual_add_f32 v108, v108, v111 :: v_dual_add_f32 v111, v183, v113
	v_sub_f32_e32 v113, v87, v37
	v_dual_sub_f32 v183, v86, v36 :: v_dual_add_f32 v110, v92, v110
	v_add_f32_e32 v112, v185, v112
	s_delay_alu instid0(VALU_DEP_3) | instskip(NEXT) | instid1(VALU_DEP_3)
	v_mul_f32_e32 v196, 0x3eedf032, v113
	v_mul_f32_e32 v211, 0xbf52af12, v183
	;; [unrolled: 1-line block ×5, first 2 shown]
	v_fmamk_f32 v195, v216, 0x3f62ad3f, v196
	v_fmamk_f32 v174, v204, 0xbeb58ec6, v169
	;; [unrolled: 1-line block ×3, first 2 shown]
	v_fma_f32 v182, 0x3f62ad3f, v204, -v182
	s_delay_alu instid0(VALU_DEP_3) | instskip(SKIP_3) | instid1(VALU_DEP_3)
	v_dual_add_f32 v107, v195, v107 :: v_dual_add_f32 v104, v174, v104
	v_fmamk_f32 v174, v204, 0x3df6dbef, v190
	v_mul_f32_e32 v202, 0xbf52af12, v113
	v_dual_add_f32 v102, v181, v102 :: v_dual_fmamk_f32 v181, v216, 0xbf788fa5, v176
	v_add_f32_e32 v110, v174, v110
	v_mul_f32_e32 v174, 0xbf7e222b, v183
	s_delay_alu instid0(VALU_DEP_1) | instskip(NEXT) | instid1(VALU_DEP_1)
	v_fma_f32 v187, 0x3df6dbef, v217, -v174
	v_add_f32_e32 v101, v187, v101
	v_dual_mul_f32 v187, 0x3f6f5d39, v113 :: v_dual_add_f32 v100, v182, v100
	v_mul_f32_e32 v188, 0x3f6f5d39, v183
	v_dual_mul_f32 v113, 0xbf29c268, v113 :: v_dual_add_f32 v104, v181, v104
	s_delay_alu instid0(VALU_DEP_3) | instskip(SKIP_1) | instid1(VALU_DEP_4)
	v_fmamk_f32 v181, v216, 0xbeb58ec6, v187
	v_mul_f32_e32 v182, 0xbe750f2a, v183
	v_fma_f32 v194, 0xbeb58ec6, v217, -v188
	s_delay_alu instid0(VALU_DEP_4)
	v_fmamk_f32 v195, v216, 0xbf3f9e67, v113
	v_fma_f32 v113, 0xbf3f9e67, v216, -v113
	v_add_f32_e32 v103, v181, v103
	v_fma_f32 v181, 0x3f62ad3f, v217, -v201
	v_fma_f32 v185, 0xbf788fa5, v217, -v182
	v_add_f32_e32 v106, v194, v106
	v_dual_mul_f32 v194, 0xbf3f9e67, v217 :: v_dual_add_f32 v111, v195, v111
	s_delay_alu instid0(VALU_DEP_4) | instskip(SKIP_2) | instid1(VALU_DEP_4)
	v_add_f32_e32 v109, v181, v109
	v_fma_f32 v181, 0x3f116cb1, v217, -v211
	v_sub_f32_e32 v195, v88, v42
	v_dual_add_f32 v105, v185, v105 :: v_dual_fmamk_f32 v198, v183, 0x3f29c268, v194
	v_fmac_f32_e32 v194, 0xbf29c268, v183
	s_delay_alu instid0(VALU_DEP_3) | instskip(SKIP_1) | instid1(VALU_DEP_3)
	v_dual_add_f32 v108, v181, v108 :: v_dual_mul_f32 v183, 0xbf6f5d39, v195
	v_dual_add_f32 v100, v113, v100 :: v_dual_mul_f32 v213, 0xbf7e222b, v195
	v_add_f32_e32 v112, v194, v112
	v_mul_f32_e32 v194, 0x3f29c268, v195
	s_delay_alu instid0(VALU_DEP_4) | instskip(SKIP_1) | instid1(VALU_DEP_2)
	v_fma_f32 v113, 0xbeb58ec6, v223, -v183
	v_mul_f32_e32 v181, 0xbf6f5d39, v203
	v_dual_mul_f32 v200, 0x3eedf032, v195 :: v_dual_add_f32 v101, v113, v101
	s_delay_alu instid0(VALU_DEP_4) | instskip(NEXT) | instid1(VALU_DEP_1)
	v_fma_f32 v113, 0xbf3f9e67, v223, -v194
	v_dual_mul_f32 v206, 0x3f116cb1, v223 :: v_dual_add_f32 v105, v113, v105
	v_fmamk_f32 v113, v221, 0x3df6dbef, v208
	s_delay_alu instid0(VALU_DEP_1) | instskip(SKIP_2) | instid1(VALU_DEP_2)
	v_add_f32_e32 v107, v113, v107
	v_fmamk_f32 v185, v216, 0x3f116cb1, v202
	v_fmamk_f32 v113, v221, 0xbf788fa5, v214
	v_dual_add_f32 v110, v185, v110 :: v_dual_mul_f32 v185, 0x3f29c268, v203
	v_dual_add_f32 v198, v198, v191 :: v_dual_fmamk_f32 v191, v221, 0xbeb58ec6, v181
	s_delay_alu instid0(VALU_DEP_2) | instskip(SKIP_2) | instid1(VALU_DEP_4)
	v_dual_mul_f32 v203, 0x3f52af12, v203 :: v_dual_add_f32 v110, v113, v110
	v_sub_f32_e32 v113, v91, v41
	v_fma_f32 v205, 0x3f62ad3f, v223, -v200
	v_dual_add_f32 v102, v191, v102 :: v_dual_fmamk_f32 v191, v221, 0xbf3f9e67, v185
	s_delay_alu instid0(VALU_DEP_3) | instskip(NEXT) | instid1(VALU_DEP_3)
	v_mul_f32_e32 v218, 0x3e750f2a, v113
	v_add_f32_e32 v106, v205, v106
	s_delay_alu instid0(VALU_DEP_3) | instskip(SKIP_3) | instid1(VALU_DEP_3)
	v_dual_fmamk_f32 v205, v221, 0x3f116cb1, v203 :: v_dual_add_f32 v104, v191, v104
	v_fmamk_f32 v191, v221, 0x3f62ad3f, v199
	v_fma_f32 v203, 0x3f116cb1, v221, -v203
	v_mul_f32_e32 v225, 0x3eedf032, v113
	v_add_f32_e32 v103, v191, v103
	v_fma_f32 v191, 0x3df6dbef, v223, -v213
	s_delay_alu instid0(VALU_DEP_4) | instskip(SKIP_1) | instid1(VALU_DEP_3)
	v_dual_add_f32 v100, v203, v100 :: v_dual_add_f32 v111, v205, v111
	v_fmamk_f32 v205, v195, 0xbf52af12, v206
	v_dual_mul_f32 v220, 0x3e750f2a, v195 :: v_dual_add_f32 v109, v191, v109
	v_fmac_f32_e32 v206, 0x3f52af12, v195
	v_mul_f32_e32 v195, 0xbf29c268, v209
	s_delay_alu instid0(VALU_DEP_4) | instskip(NEXT) | instid1(VALU_DEP_4)
	v_add_f32_e32 v215, v205, v198
	v_fma_f32 v191, 0xbf788fa5, v223, -v220
	v_fma_f32 v222, 0x3f116cb1, v228, -v212
	v_mul_f32_e32 v198, 0x3f7e222b, v113
	v_fma_f32 v203, 0xbf3f9e67, v228, -v195
	s_delay_alu instid0(VALU_DEP_3) | instskip(SKIP_1) | instid1(VALU_DEP_3)
	v_dual_add_f32 v108, v191, v108 :: v_dual_add_f32 v249, v222, v106
	v_dual_mul_f32 v191, 0xbf29c268, v113 :: v_dual_add_f32 v112, v206, v112
	v_add_f32_e32 v101, v203, v101
	v_fmamk_f32 v203, v227, 0x3df6dbef, v198
	v_mul_f32_e32 v222, 0xbf29c268, v251
	s_delay_alu instid0(VALU_DEP_4) | instskip(NEXT) | instid1(VALU_DEP_3)
	v_fmamk_f32 v210, v227, 0xbf3f9e67, v191
	v_add_f32_e32 v104, v203, v104
	v_fma_f32 v203, 0x3f62ad3f, v228, -v229
	s_delay_alu instid0(VALU_DEP_3) | instskip(SKIP_1) | instid1(VALU_DEP_3)
	v_add_f32_e32 v102, v210, v102
	v_mul_f32_e32 v210, 0xbf52af12, v113
	v_add_f32_e32 v250, v203, v108
	s_delay_alu instid0(VALU_DEP_2) | instskip(SKIP_1) | instid1(VALU_DEP_2)
	v_dual_sub_f32 v108, v81, v83 :: v_dual_fmamk_f32 v219, v227, 0x3f116cb1, v210
	v_mul_f32_e32 v106, 0xbf6f5d39, v113
	v_dual_add_f32 v232, v83, v81 :: v_dual_mul_f32 v203, 0xbe750f2a, v108
	s_delay_alu instid0(VALU_DEP_3) | instskip(SKIP_3) | instid1(VALU_DEP_3)
	v_add_f32_e32 v234, v219, v103
	v_fmamk_f32 v103, v227, 0xbf788fa5, v218
	v_mul_f32_e32 v206, 0x3f7e222b, v209
	v_mul_f32_e32 v231, 0xbf6f5d39, v108
	v_dual_mul_f32 v226, 0x3f52af12, v108 :: v_dual_add_f32 v113, v103, v107
	s_delay_alu instid0(VALU_DEP_3) | instskip(NEXT) | instid1(VALU_DEP_1)
	v_fma_f32 v205, 0x3df6dbef, v228, -v206
	v_add_f32_e32 v105, v205, v105
	v_fmamk_f32 v205, v227, 0xbeb58ec6, v106
	v_fma_f32 v106, 0xbeb58ec6, v227, -v106
	s_delay_alu instid0(VALU_DEP_1) | instskip(NEXT) | instid1(VALU_DEP_1)
	v_dual_mul_f32 v224, 0x3e750f2a, v209 :: v_dual_add_f32 v253, v106, v100
	v_fma_f32 v103, 0xbf788fa5, v228, -v224
	v_fmamk_f32 v100, v233, 0xbf788fa5, v203
	v_fmamk_f32 v107, v227, 0x3f62ad3f, v225
	s_delay_alu instid0(VALU_DEP_2) | instskip(NEXT) | instid1(VALU_DEP_2)
	v_dual_add_f32 v109, v103, v109 :: v_dual_add_f32 v100, v100, v102
	v_dual_mul_f32 v219, 0xbeb58ec6, v228 :: v_dual_add_f32 v110, v107, v110
	v_mul_f32_e32 v230, 0x3f52af12, v251
	s_delay_alu instid0(VALU_DEP_2) | instskip(SKIP_1) | instid1(VALU_DEP_2)
	v_fmamk_f32 v103, v209, 0x3f6f5d39, v219
	v_fmac_f32_e32 v219, 0xbf6f5d39, v209
	v_dual_mul_f32 v209, 0x3eedf032, v108 :: v_dual_add_f32 v252, v103, v215
	s_delay_alu instid0(VALU_DEP_2) | instskip(NEXT) | instid1(VALU_DEP_2)
	v_add_f32_e32 v254, v219, v112
	v_fmamk_f32 v102, v233, 0x3f62ad3f, v209
	v_mul_f32_e32 v219, 0xbf29c268, v108
	v_fmamk_f32 v112, v233, 0x3f116cb1, v226
	s_delay_alu instid0(VALU_DEP_3) | instskip(SKIP_3) | instid1(VALU_DEP_2)
	v_dual_mul_f32 v215, 0x3eedf032, v251 :: v_dual_add_f32 v102, v102, v104
	v_add_f32_e32 v111, v205, v111
	v_mul_f32_e32 v205, 0xbe750f2a, v251
	v_fmamk_f32 v104, v233, 0xbf3f9e67, v219
	v_fma_f32 v103, 0xbf788fa5, v232, -v205
	s_delay_alu instid0(VALU_DEP_2)
	v_add_f32_e32 v106, v104, v234
	v_add_f32_e32 v104, v112, v113
	v_fmamk_f32 v112, v233, 0xbeb58ec6, v231
	v_mul_f32_e32 v113, 0x3f7e222b, v108
	v_add_f32_e32 v101, v103, v101
	v_fma_f32 v103, 0x3f62ad3f, v232, -v215
	v_mul_f32_e32 v234, 0xbf6f5d39, v251
	v_add_f32_e32 v108, v112, v110
	s_delay_alu instid0(VALU_DEP_3) | instskip(SKIP_1) | instid1(VALU_DEP_2)
	v_dual_fmamk_f32 v110, v233, 0x3df6dbef, v113 :: v_dual_add_f32 v103, v103, v105
	v_fma_f32 v105, 0xbf3f9e67, v232, -v222
	v_add_f32_e32 v110, v110, v111
	v_fma_f32 v113, 0x3df6dbef, v233, -v113
	s_delay_alu instid0(VALU_DEP_3) | instskip(SKIP_2) | instid1(VALU_DEP_2)
	v_add_f32_e32 v107, v105, v249
	v_fma_f32 v105, 0x3f116cb1, v232, -v230
	v_mul_f32_e32 v249, 0x3df6dbef, v232
	v_add_f32_e32 v105, v105, v109
	v_fma_f32 v109, 0xbeb58ec6, v232, -v234
	s_delay_alu instid0(VALU_DEP_3) | instskip(SKIP_1) | instid1(VALU_DEP_3)
	v_fmamk_f32 v112, v251, 0xbf7e222b, v249
	v_fmac_f32_e32 v249, 0x3f7e222b, v251
	v_add_f32_e32 v109, v109, v250
	s_delay_alu instid0(VALU_DEP_3) | instskip(NEXT) | instid1(VALU_DEP_3)
	v_dual_add_f32 v111, v112, v252 :: v_dual_add_f32 v112, v113, v253
	v_add_f32_e32 v113, v249, v254
	s_and_saveexec_b32 s1, vcc_lo
	s_cbranch_execz .LBB0_17
; %bb.16:
	v_dual_mul_f32 v241, 0xbf788fa5, v217 :: v_dual_add_f32 v94, v94, v92
	v_dual_add_f32 v95, v95, v93 :: v_dual_mul_f32 v96, 0x3f62ad3f, v192
	v_mul_f32_e32 v97, 0x3f62ad3f, v193
	v_dual_mul_f32 v98, 0x3f116cb1, v192 :: v_dual_mul_f32 v99, 0x3f116cb1, v193
	v_dual_mul_f32 v114, 0x3df6dbef, v192 :: v_dual_mul_f32 v115, 0x3df6dbef, v193
	v_dual_mul_f32 v116, 0xbeb58ec6, v192 :: v_dual_mul_f32 v117, 0xbeb58ec6, v193
	v_dual_mul_f32 v118, 0xbf3f9e67, v192 :: v_dual_mul_f32 v119, 0xbf3f9e67, v193
	v_dual_mul_f32 v193, 0xbf788fa5, v204 :: v_dual_add_f32 v84, v84, v94
	v_mul_f32_e32 v94, 0x3df6dbef, v223
	v_dual_mul_f32 v252, 0x3df6dbef, v221 :: v_dual_add_f32 v85, v85, v95
	s_delay_alu instid0(VALU_DEP_3) | instskip(SKIP_1) | instid1(VALU_DEP_3)
	v_dual_mul_f32 v95, 0xbf788fa5, v221 :: v_dual_add_f32 v84, v86, v84
	v_dual_mul_f32 v246, 0xbeb58ec6, v221 :: v_dual_mul_f32 v247, 0xbeb58ec6, v223
	v_dual_add_f32 v85, v87, v85 :: v_dual_mul_f32 v86, 0xbf3f9e67, v227
	v_dual_mul_f32 v248, 0xbf3f9e67, v221 :: v_dual_mul_f32 v249, 0xbf3f9e67, v223
	v_dual_mul_f32 v250, 0x3f62ad3f, v221 :: v_dual_mul_f32 v251, 0x3f62ad3f, v223
	v_dual_mul_f32 v221, 0xbf788fa5, v223 :: v_dual_add_f32 v84, v88, v84
	s_delay_alu instid0(VALU_DEP_4) | instskip(SKIP_2) | instid1(VALU_DEP_3)
	v_add_f32_e32 v85, v89, v85
	v_dual_mul_f32 v151, 0x3f116cb1, v204 :: v_dual_mul_f32 v152, 0x3f116cb1, v207
	v_dual_mul_f32 v161, 0xbeb58ec6, v204 :: v_dual_mul_f32 v192, 0xbeb58ec6, v207
	v_dual_add_f32 v84, v90, v84 :: v_dual_add_f32 v85, v91, v85
	v_mul_f32_e32 v90, 0xbf788fa5, v227
	v_mul_f32_e32 v89, 0x3f116cb1, v227
	v_dual_mul_f32 v235, 0xbf788fa5, v207 :: v_dual_mul_f32 v240, 0xbf788fa5, v216
	s_delay_alu instid0(VALU_DEP_4) | instskip(SKIP_3) | instid1(VALU_DEP_4)
	v_dual_add_f32 v81, v81, v85 :: v_dual_add_f32 v80, v80, v84
	v_dual_mul_f32 v236, 0xbf3f9e67, v204 :: v_dual_mul_f32 v237, 0xbf3f9e67, v207
	v_dual_mul_f32 v204, 0x3df6dbef, v204 :: v_dual_mul_f32 v207, 0x3df6dbef, v207
	v_mul_f32_e32 v87, 0xbf3f9e67, v228
	v_dual_mul_f32 v85, 0xbf788fa5, v233 :: v_dual_add_f32 v80, v82, v80
	v_dual_add_f32 v81, v83, v81 :: v_dual_add_f32 v82, v186, v119
	v_dual_mul_f32 v238, 0x3df6dbef, v216 :: v_dual_mul_f32 v239, 0x3df6dbef, v217
	v_dual_mul_f32 v242, 0xbeb58ec6, v216 :: v_dual_mul_f32 v243, 0xbeb58ec6, v217
	;; [unrolled: 1-line block ×4, first 2 shown]
	v_mul_f32_e32 v253, 0x3f116cb1, v228
	v_add_f32_e32 v40, v40, v80
	v_add_f32_e32 v80, v93, v82
	v_dual_add_f32 v41, v41, v81 :: v_dual_mul_f32 v186, 0xbf3f9e67, v232
	v_dual_add_f32 v81, v197, v207 :: v_dual_mul_f32 v82, 0xbf3f9e67, v233
	s_delay_alu instid0(VALU_DEP_4) | instskip(NEXT) | instid1(VALU_DEP_2)
	v_dual_mul_f32 v83, 0x3f62ad3f, v233 :: v_dual_add_f32 v40, v42, v40
	v_dual_add_f32 v41, v43, v41 :: v_dual_add_f32 v42, v81, v80
	v_add_f32_e32 v43, v211, v217
	v_dual_mul_f32 v223, 0x3df6dbef, v227 :: v_dual_mul_f32 v88, 0x3df6dbef, v228
	v_dual_mul_f32 v227, 0x3f62ad3f, v227 :: v_dual_mul_f32 v84, 0x3f62ad3f, v228
	v_add_f32_e32 v36, v36, v40
	s_delay_alu instid0(VALU_DEP_4)
	v_dual_mul_f32 v91, 0xbf788fa5, v228 :: v_dual_add_f32 v40, v43, v42
	v_add_f32_e32 v37, v37, v41
	v_add_f32_e32 v41, v220, v221
	v_mul_f32_e32 v42, 0xbeb58ec6, v233
	v_add_f32_e32 v36, v38, v36
	v_add_f32_e32 v43, v178, v117
	s_delay_alu instid0(VALU_DEP_4) | instskip(SKIP_4) | instid1(VALU_DEP_3)
	v_dual_add_f32 v37, v39, v37 :: v_dual_add_f32 v38, v41, v40
	v_mul_f32_e32 v39, 0xbeb58ec6, v232
	v_add_f32_e32 v40, v229, v84
	v_mul_f32_e32 v119, 0x3f62ad3f, v232
	v_dual_sub_f32 v41, v118, v180 :: v_dual_add_f32 v84, v189, v237
	v_dual_add_f32 v39, v234, v39 :: v_dual_add_f32 v38, v40, v38
	v_dual_mul_f32 v80, 0x3f116cb1, v233 :: v_dual_mul_f32 v81, 0x3f116cb1, v232
	s_delay_alu instid0(VALU_DEP_3) | instskip(SKIP_1) | instid1(VALU_DEP_4)
	v_add_f32_e32 v40, v92, v41
	v_sub_f32_e32 v41, v204, v190
	v_dual_add_f32 v39, v39, v38 :: v_dual_sub_f32 v38, v116, v175
	v_dual_add_f32 v43, v93, v43 :: v_dual_sub_f32 v116, v236, v184
	v_add_f32_e32 v88, v206, v88
	v_sub_f32_e32 v80, v80, v226
	s_delay_alu instid0(VALU_DEP_4) | instskip(NEXT) | instid1(VALU_DEP_4)
	v_add_f32_e32 v38, v92, v38
	v_dual_add_f32 v43, v84, v43 :: v_dual_add_f32 v84, v201, v245
	v_dual_add_f32 v40, v41, v40 :: v_dual_sub_f32 v41, v216, v202
	v_sub_f32_e32 v82, v82, v219
	v_mul_f32_e32 v228, 0xbf788fa5, v232
	v_sub_f32_e32 v86, v86, v191
	v_dual_add_f32 v37, v150, v37 :: v_dual_add_f32 v36, v149, v36
	v_dual_add_f32 v40, v41, v40 :: v_dual_sub_f32 v41, v95, v214
	v_dual_add_f32 v43, v84, v43 :: v_dual_add_f32 v84, v213, v94
	v_add_f32_e32 v38, v116, v38
	v_sub_f32_e32 v94, v244, v196
	s_delay_alu instid0(VALU_DEP_4) | instskip(NEXT) | instid1(VALU_DEP_4)
	v_dual_add_f32 v40, v41, v40 :: v_dual_sub_f32 v41, v227, v225
	v_add_f32_e32 v43, v84, v43
	v_add_f32_e32 v84, v224, v91
	v_sub_f32_e32 v91, v252, v208
	s_delay_alu instid0(VALU_DEP_4)
	v_dual_add_f32 v87, v195, v87 :: v_dual_add_f32 v40, v41, v40
	v_sub_f32_e32 v41, v42, v231
	v_add_f32_e32 v38, v94, v38
	v_dual_add_f32 v42, v84, v43 :: v_dual_add_f32 v43, v230, v81
	v_sub_f32_e32 v84, v90, v218
	v_add_f32_e32 v90, v171, v115
	s_delay_alu instid0(VALU_DEP_4) | instskip(NEXT) | instid1(VALU_DEP_4)
	v_dual_add_f32 v81, v91, v38 :: v_dual_add_f32 v38, v41, v40
	v_add_f32_e32 v41, v43, v42
	v_add_f32_e32 v91, v173, v192
	s_delay_alu instid0(VALU_DEP_3) | instskip(SKIP_4) | instid1(VALU_DEP_4)
	v_dual_add_f32 v43, v93, v90 :: v_dual_add_f32 v42, v84, v81
	v_dual_add_f32 v81, v179, v235 :: v_dual_sub_f32 v40, v114, v170
	v_sub_f32_e32 v84, v193, v177
	v_add_f32_e32 v90, v167, v99
	v_sub_f32_e32 v83, v83, v209
	v_add_f32_e32 v43, v81, v43
	v_add_f32_e32 v81, v188, v243
	v_dual_add_f32 v40, v92, v40 :: v_dual_sub_f32 v85, v85, v203
	s_delay_alu instid0(VALU_DEP_2) | instskip(SKIP_1) | instid1(VALU_DEP_1)
	v_add_f32_e32 v43, v81, v43
	v_add_f32_e32 v81, v200, v251
	v_dual_add_f32 v40, v84, v40 :: v_dual_add_f32 v43, v81, v43
	v_dual_add_f32 v81, v212, v253 :: v_dual_add_f32 v90, v93, v90
	s_delay_alu instid0(VALU_DEP_1) | instskip(SKIP_2) | instid1(VALU_DEP_1)
	v_dual_add_f32 v43, v81, v43 :: v_dual_add_f32 v90, v91, v90
	v_add_f32_e32 v91, v182, v241
	v_sub_f32_e32 v84, v242, v187
	v_dual_add_f32 v81, v222, v186 :: v_dual_add_f32 v40, v84, v40
	v_sub_f32_e32 v84, v250, v199
	s_delay_alu instid0(VALU_DEP_1) | instskip(SKIP_3) | instid1(VALU_DEP_2)
	v_dual_add_f32 v43, v81, v43 :: v_dual_add_f32 v40, v84, v40
	v_sub_f32_e32 v84, v89, v210
	v_dual_add_f32 v89, v91, v90 :: v_dual_add_f32 v90, v194, v249
	v_sub_f32_e32 v91, v151, v166
	v_dual_add_f32 v89, v90, v89 :: v_dual_add_f32 v84, v84, v40
	v_add_f32_e32 v40, v80, v42
	v_sub_f32_e32 v80, v98, v165
	v_add_f32_e32 v90, v168, v152
	s_delay_alu instid0(VALU_DEP_4) | instskip(SKIP_1) | instid1(VALU_DEP_4)
	v_add_f32_e32 v81, v88, v89
	v_dual_sub_f32 v88, v96, v163 :: v_dual_sub_f32 v89, v161, v169
	v_add_f32_e32 v80, v92, v80
	s_delay_alu instid0(VALU_DEP_2) | instskip(NEXT) | instid1(VALU_DEP_2)
	v_add_f32_e32 v88, v92, v88
	v_add_f32_e32 v80, v89, v80
	v_sub_f32_e32 v89, v240, v176
	v_add_f32_e32 v42, v82, v84
	v_add_f32_e32 v82, v164, v97
	;; [unrolled: 1-line block ×3, first 2 shown]
	v_dual_sub_f32 v91, v238, v172 :: v_dual_add_f32 v84, v215, v119
	v_dual_add_f32 v80, v89, v80 :: v_dual_sub_f32 v89, v248, v185
	s_delay_alu instid0(VALU_DEP_2) | instskip(NEXT) | instid1(VALU_DEP_3)
	v_dual_add_f32 v88, v91, v88 :: v_dual_sub_f32 v91, v246, v181
	v_dual_add_f32 v82, v93, v82 :: v_dual_add_f32 v81, v84, v81
	s_delay_alu instid0(VALU_DEP_3) | instskip(NEXT) | instid1(VALU_DEP_3)
	v_dual_add_f32 v80, v89, v80 :: v_dual_sub_f32 v89, v223, v198
	v_add_f32_e32 v88, v91, v88
	s_delay_alu instid0(VALU_DEP_3) | instskip(SKIP_1) | instid1(VALU_DEP_4)
	v_add_f32_e32 v82, v90, v82
	v_add_f32_e32 v90, v174, v239
	;; [unrolled: 1-line block ×3, first 2 shown]
	s_delay_alu instid0(VALU_DEP_4) | instskip(SKIP_1) | instid1(VALU_DEP_4)
	v_add_f32_e32 v86, v86, v88
	v_lshl_add_u32 v88, v157, 3, v155
	v_add_f32_e32 v82, v90, v82
	v_add_f32_e32 v90, v183, v247
	;; [unrolled: 1-line block ×3, first 2 shown]
	s_delay_alu instid0(VALU_DEP_2) | instskip(NEXT) | instid1(VALU_DEP_1)
	v_add_f32_e32 v82, v90, v82
	v_dual_add_f32 v82, v87, v82 :: v_dual_add_f32 v87, v205, v228
	s_delay_alu instid0(VALU_DEP_1)
	v_add_f32_e32 v83, v87, v82
	v_add_f32_e32 v82, v85, v86
	ds_store_2addr_b64 v88, v[36:37], v[100:101] offset1:1
	ds_store_2addr_b64 v88, v[102:103], v[106:107] offset0:2 offset1:3
	ds_store_2addr_b64 v88, v[104:105], v[108:109] offset0:4 offset1:5
	ds_store_2addr_b64 v88, v[110:111], v[112:113] offset0:6 offset1:7
	ds_store_2addr_b64 v88, v[38:39], v[40:41] offset0:8 offset1:9
	ds_store_2addr_b64 v88, v[42:43], v[80:81] offset0:10 offset1:11
	ds_store_b64 v88, v[82:83] offset:96
.LBB0_17:
	s_wait_alu 0xfffe
	s_or_b32 exec_lo, exec_lo, s1
	v_add_nc_u32_e32 v40, 0x800, v153
	v_add_nc_u32_e32 v114, 0x400, v153
	;; [unrolled: 1-line block ×6, first 2 shown]
	global_wb scope:SCOPE_SE
	s_wait_dscnt 0x0
	s_barrier_signal -1
	s_barrier_wait -1
	global_inv scope:SCOPE_SE
	ds_load_2addr_b64 v[36:39], v153 offset1:91
	ds_load_2addr_b64 v[88:91], v114 offset0:67 offset1:158
	ds_load_2addr_b64 v[96:99], v40 offset0:134 offset1:225
	;; [unrolled: 1-line block ×6, first 2 shown]
	s_and_saveexec_b32 s1, s0
	s_cbranch_execz .LBB0_19
; %bb.18:
	ds_load_2addr_b64 v[100:103], v115 offset0:60 offset1:255
	s_wait_dscnt 0x0
	v_dual_mov_b32 v105, v103 :: v_dual_add_nc_u32 v104, 0x1e00, v153
	ds_load_2addr_b64 v[114:117], v114 offset0:54 offset1:249
	ds_load_2addr_b64 v[108:111], v104 offset0:2 offset1:197
	ds_load_b64 v[112:113], v153 offset:10816
	v_dual_mov_b32 v104, v102 :: v_dual_mov_b32 v107, v101
	s_wait_dscnt 0x2
	v_dual_mov_b32 v106, v100 :: v_dual_mov_b32 v103, v117
	v_dual_mov_b32 v102, v116 :: v_dual_mov_b32 v101, v115
	v_mov_b32_e32 v100, v114
.LBB0_19:
	s_wait_alu 0xfffe
	s_or_b32 exec_lo, exec_lo, s1
	s_wait_dscnt 0x5
	v_mul_f32_e32 v116, v25, v89
	s_wait_dscnt 0x4
	v_mul_f32_e32 v118, v27, v97
	v_mul_f32_e32 v27, v27, v96
	v_add_nc_u32_e32 v115, 0x5b0, v153
	v_dual_mul_f32 v117, v25, v88 :: v_dual_add_nc_u32 v114, 0x888, v153
	s_delay_alu instid0(VALU_DEP_4)
	v_dual_fmac_f32 v118, v26, v96 :: v_dual_add_nc_u32 v25, 0xb60, v153
	v_fmac_f32_e32 v116, v24, v88
	v_fma_f32 v26, v26, v97, -v27
	s_wait_dscnt 0x2
	v_mul_f32_e32 v88, v35, v85
	v_mul_f32_e32 v27, v33, v93
	;; [unrolled: 1-line block ×4, first 2 shown]
	v_fma_f32 v24, v24, v89, -v117
	v_fmac_f32_e32 v88, v34, v84
	v_fmac_f32_e32 v27, v32, v92
	v_fma_f32 v32, v32, v93, -v33
	v_fma_f32 v33, v34, v85, -v35
	s_wait_dscnt 0x0
	v_dual_mul_f32 v34, v31, v41 :: v_dual_mul_f32 v35, v21, v91
	v_mul_f32_e32 v89, v29, v81
	v_dual_mul_f32 v31, v31, v40 :: v_dual_mul_f32 v84, v13, v83
	s_delay_alu instid0(VALU_DEP_3) | instskip(NEXT) | instid1(VALU_DEP_3)
	v_fmac_f32_e32 v34, v30, v40
	v_dual_mul_f32 v40, v17, v95 :: v_dual_fmac_f32 v89, v28, v80
	v_mul_f32_e32 v29, v29, v80
	v_mul_f32_e32 v21, v21, v90
	v_fmac_f32_e32 v35, v20, v90
	s_delay_alu instid0(VALU_DEP_4)
	v_fmac_f32_e32 v40, v16, v94
	v_mul_f32_e32 v17, v17, v94
	v_fma_f32 v28, v28, v81, -v29
	v_fma_f32 v29, v30, v41, -v31
	;; [unrolled: 1-line block ×3, first 2 shown]
	v_mul_f32_e32 v20, v23, v98
	v_dual_mul_f32 v31, v23, v99 :: v_dual_fmac_f32 v84, v12, v82
	v_mul_f32_e32 v41, v19, v87
	v_mul_f32_e32 v85, v15, v43
	s_delay_alu instid0(VALU_DEP_4) | instskip(SKIP_4) | instid1(VALU_DEP_4)
	v_fma_f32 v80, v22, v99, -v20
	v_dual_add_f32 v20, v27, v88 :: v_dual_mul_f32 v13, v13, v82
	v_dual_fmac_f32 v31, v22, v98 :: v_dual_sub_f32 v22, v88, v27
	v_fma_f32 v81, v16, v95, -v17
	v_mul_f32_e32 v16, v19, v86
	v_fma_f32 v82, v12, v83, -v13
	v_add_f32_e32 v13, v24, v29
	v_sub_f32_e32 v19, v26, v28
	v_sub_f32_e32 v23, v33, v32
	v_add_f32_e32 v21, v32, v33
	v_add_f32_e32 v12, v116, v34
	v_fmac_f32_e32 v41, v18, v86
	v_fma_f32 v86, v18, v87, -v16
	v_add_f32_e32 v16, v118, v89
	v_dual_add_f32 v17, v26, v28 :: v_dual_sub_f32 v32, v13, v21
	v_dual_mul_f32 v15, v15, v42 :: v_dual_sub_f32 v18, v118, v89
	s_delay_alu instid0(VALU_DEP_2) | instskip(SKIP_1) | instid1(VALU_DEP_3)
	v_dual_fmac_f32 v85, v14, v42 :: v_dual_sub_f32 v28, v17, v13
	v_add_f32_e32 v26, v17, v13
	v_fma_f32 v42, v14, v43, -v15
	v_sub_f32_e32 v14, v116, v34
	v_sub_f32_e32 v15, v24, v29
	v_add_f32_e32 v24, v16, v12
	v_sub_f32_e32 v27, v16, v12
	v_dual_sub_f32 v29, v12, v20 :: v_dual_add_f32 v12, v22, v18
	v_dual_sub_f32 v16, v20, v16 :: v_dual_sub_f32 v33, v22, v18
	v_sub_f32_e32 v22, v14, v22
	v_sub_f32_e32 v18, v18, v14
	v_add_f32_e32 v20, v20, v24
	v_add_f32_e32 v14, v12, v14
	v_dual_sub_f32 v34, v23, v19 :: v_dual_sub_f32 v17, v21, v17
	s_delay_alu instid0(VALU_DEP_3) | instskip(SKIP_2) | instid1(VALU_DEP_4)
	v_dual_add_f32 v13, v23, v19 :: v_dual_add_f32 v12, v36, v20
	v_sub_f32_e32 v23, v15, v23
	v_add_f32_e32 v21, v21, v26
	v_dual_sub_f32 v19, v19, v15 :: v_dual_mul_f32 v34, 0x3f08b237, v34
	v_mul_f32_e32 v26, 0x3f4a47b2, v32
	v_mul_f32_e32 v32, 0x3d64c772, v17
	v_dual_mul_f32 v24, 0x3f4a47b2, v29 :: v_dual_add_f32 v15, v13, v15
	v_mul_f32_e32 v36, 0xbf5ff5aa, v18
	v_dual_fmamk_f32 v20, v20, 0xbf955555, v12 :: v_dual_add_f32 v13, v37, v21
	v_fmamk_f32 v17, v17, 0x3d64c772, v26
	v_fma_f32 v32, 0x3f3bfb3b, v28, -v32
	v_fma_f32 v26, 0xbf3bfb3b, v28, -v26
	v_dual_mul_f32 v29, 0x3d64c772, v16 :: v_dual_fmamk_f32 v16, v16, 0x3d64c772, v24
	v_fma_f32 v24, 0xbf3bfb3b, v27, -v24
	v_fmamk_f32 v28, v23, 0xbeae86e6, v34
	v_mul_f32_e32 v33, 0x3f08b237, v33
	v_fma_f32 v36, 0x3eae86e6, v22, -v36
	v_fma_f32 v34, 0xbf5ff5aa, v19, -v34
	v_dual_add_f32 v24, v24, v20 :: v_dual_mul_f32 v37, 0xbf5ff5aa, v19
	v_fmac_f32_e32 v28, 0xbee1c552, v15
	v_fmamk_f32 v21, v21, 0xbf955555, v13
	s_delay_alu instid0(VALU_DEP_4)
	v_fmac_f32_e32 v34, 0xbee1c552, v15
	global_wb scope:SCOPE_SE
	s_barrier_signal -1
	s_barrier_wait -1
	v_add_f32_e32 v26, v26, v21
	v_fma_f32 v29, 0x3f3bfb3b, v27, -v29
	v_fmamk_f32 v27, v22, 0xbeae86e6, v33
	v_fma_f32 v22, 0x3eae86e6, v23, -v37
	v_fma_f32 v33, 0xbf5ff5aa, v18, -v33
	v_add_f32_e32 v37, v16, v20
	v_add_f32_e32 v23, v29, v20
	global_inv scope:SCOPE_SE
	v_dual_fmac_f32 v22, 0xbee1c552, v15 :: v_dual_fmac_f32 v33, 0xbee1c552, v14
	v_sub_f32_e32 v18, v23, v34
	v_add_f32_e32 v20, v34, v23
	s_delay_alu instid0(VALU_DEP_3)
	v_add_f32_e32 v16, v22, v24
	v_sub_f32_e32 v22, v24, v22
	v_fmac_f32_e32 v27, 0xbee1c552, v14
	v_fmac_f32_e32 v36, 0xbee1c552, v14
	v_add_f32_e32 v14, v28, v37
	v_add_f32_e32 v29, v32, v21
	;; [unrolled: 1-line block ×3, first 2 shown]
	s_delay_alu instid0(VALU_DEP_4) | instskip(SKIP_1) | instid1(VALU_DEP_4)
	v_dual_add_f32 v24, v35, v85 :: v_dual_sub_f32 v17, v26, v36
	v_dual_add_f32 v23, v36, v26 :: v_dual_add_f32 v32, v31, v84
	v_add_f32_e32 v19, v33, v29
	v_sub_f32_e32 v21, v29, v33
	v_dual_sub_f32 v26, v37, v28 :: v_dual_sub_f32 v15, v43, v27
	v_dual_add_f32 v27, v27, v43 :: v_dual_sub_f32 v34, v80, v82
	v_dual_add_f32 v28, v30, v42 :: v_dual_sub_f32 v29, v35, v85
	v_add_f32_e32 v36, v81, v86
	v_add_f32_e32 v33, v80, v82
	;; [unrolled: 1-line block ×3, first 2 shown]
	v_dual_sub_f32 v37, v41, v40 :: v_dual_sub_f32 v40, v86, v81
	v_sub_f32_e32 v30, v30, v42
	s_delay_alu instid0(VALU_DEP_4)
	v_add_f32_e32 v42, v33, v28
	v_sub_f32_e32 v31, v31, v84
	v_sub_f32_e32 v43, v32, v24
	v_add_f32_e32 v82, v40, v34
	v_add_f32_e32 v41, v32, v24
	v_dual_sub_f32 v80, v33, v28 :: v_dual_sub_f32 v33, v36, v33
	v_sub_f32_e32 v24, v24, v35
	v_sub_f32_e32 v81, v28, v36
	v_dual_sub_f32 v32, v35, v32 :: v_dual_sub_f32 v83, v37, v31
	v_dual_add_f32 v28, v37, v31 :: v_dual_add_f32 v35, v35, v41
	v_add_f32_e32 v36, v36, v42
	v_dual_sub_f32 v84, v40, v34 :: v_dual_sub_f32 v37, v29, v37
	v_dual_sub_f32 v40, v30, v40 :: v_dual_sub_f32 v31, v31, v29
	s_delay_alu instid0(VALU_DEP_4)
	v_dual_sub_f32 v34, v34, v30 :: v_dual_add_f32 v41, v28, v29
	v_add_f32_e32 v28, v38, v35
	v_dual_add_f32 v30, v82, v30 :: v_dual_add_f32 v29, v39, v36
	v_mul_f32_e32 v38, 0x3f4a47b2, v81
	v_dual_mul_f32 v39, 0x3d64c772, v32 :: v_dual_mul_f32 v42, 0x3d64c772, v33
	v_dual_mul_f32 v81, 0x3f08b237, v83 :: v_dual_mul_f32 v82, 0x3f08b237, v84
	s_delay_alu instid0(VALU_DEP_4) | instskip(NEXT) | instid1(VALU_DEP_3)
	v_dual_fmamk_f32 v35, v35, 0xbf955555, v28 :: v_dual_fmamk_f32 v36, v36, 0xbf955555, v29
	v_fma_f32 v39, 0x3f3bfb3b, v43, -v39
	v_mul_f32_e32 v24, 0x3f4a47b2, v24
	v_dual_mul_f32 v83, 0xbf5ff5aa, v31 :: v_dual_mul_f32 v84, 0xbf5ff5aa, v34
	v_fmamk_f32 v33, v33, 0x3d64c772, v38
	v_fma_f32 v42, 0x3f3bfb3b, v80, -v42
	s_delay_alu instid0(VALU_DEP_4)
	v_fmamk_f32 v32, v32, 0x3d64c772, v24
	v_fma_f32 v24, 0xbf3bfb3b, v43, -v24
	v_fma_f32 v38, 0xbf3bfb3b, v80, -v38
	v_add_f32_e32 v85, v33, v36
	v_dual_fmamk_f32 v43, v37, 0xbeae86e6, v81 :: v_dual_fmamk_f32 v80, v40, 0xbeae86e6, v82
	v_fma_f32 v81, 0xbf5ff5aa, v31, -v81
	v_fma_f32 v82, 0xbf5ff5aa, v34, -v82
	;; [unrolled: 1-line block ×4, first 2 shown]
	v_add_f32_e32 v84, v32, v35
	v_add_f32_e32 v37, v39, v35
	v_dual_add_f32 v39, v42, v36 :: v_dual_add_f32 v24, v24, v35
	v_dual_add_f32 v42, v38, v36 :: v_dual_fmac_f32 v43, 0xbee1c552, v41
	v_dual_fmac_f32 v80, 0xbee1c552, v30 :: v_dual_fmac_f32 v81, 0xbee1c552, v41
	v_dual_fmac_f32 v40, 0xbee1c552, v30 :: v_dual_fmac_f32 v83, 0xbee1c552, v41
	s_delay_alu instid0(VALU_DEP_3) | instskip(NEXT) | instid1(VALU_DEP_3)
	v_dual_fmac_f32 v82, 0xbee1c552, v30 :: v_dual_sub_f32 v31, v85, v43
	v_add_f32_e32 v30, v80, v84
	s_delay_alu instid0(VALU_DEP_3) | instskip(NEXT) | instid1(VALU_DEP_3)
	v_dual_add_f32 v32, v40, v24 :: v_dual_add_f32 v35, v81, v39
	v_dual_sub_f32 v33, v42, v83 :: v_dual_sub_f32 v34, v37, v82
	v_add_f32_e32 v36, v82, v37
	v_sub_f32_e32 v37, v39, v81
	v_dual_add_f32 v39, v83, v42 :: v_dual_sub_f32 v38, v24, v40
	v_dual_add_f32 v41, v43, v85 :: v_dual_sub_f32 v40, v84, v80
	ds_store_2addr_b64 v159, v[12:13], v[14:15] offset1:13
	ds_store_2addr_b64 v159, v[16:17], v[18:19] offset0:26 offset1:39
	ds_store_2addr_b64 v159, v[20:21], v[22:23] offset0:52 offset1:65
	ds_store_b64 v159, v[26:27] offset:624
	ds_store_2addr_b64 v158, v[28:29], v[30:31] offset1:13
	ds_store_2addr_b64 v158, v[32:33], v[34:35] offset0:26 offset1:39
	ds_store_2addr_b64 v158, v[36:37], v[38:39] offset0:52 offset1:65
	ds_store_b64 v158, v[40:41] offset:624
	s_and_saveexec_b32 s1, s0
	s_cbranch_execz .LBB0_21
; %bb.20:
	v_dual_mul_f32 v12, v5, v103 :: v_dual_mul_f32 v13, v3, v109
	v_dual_mul_f32 v16, v9, v111 :: v_dual_mul_f32 v17, v11, v113
	;; [unrolled: 1-line block ×3, first 2 shown]
	s_delay_alu instid0(VALU_DEP_3) | instskip(NEXT) | instid1(VALU_DEP_3)
	v_dual_fmac_f32 v12, v4, v102 :: v_dual_mul_f32 v1, v1, v104
	v_fmac_f32_e32 v17, v10, v112
	v_mul_f32_e32 v11, v11, v112
	v_mul_f32_e32 v3, v3, v108
	v_dual_fmac_f32 v13, v2, v108 :: v_dual_fmac_f32 v16, v8, v110
	v_dual_fmac_f32 v14, v0, v104 :: v_dual_fmac_f32 v15, v6, v106
	v_sub_f32_e32 v20, v12, v17
	v_fma_f32 v10, v10, v113, -v11
	v_mul_f32_e32 v5, v5, v102
	v_fma_f32 v0, v0, v105, -v1
	v_fma_f32 v2, v2, v109, -v3
	v_dual_sub_f32 v18, v13, v14 :: v_dual_sub_f32 v19, v15, v16
	s_delay_alu instid0(VALU_DEP_4) | instskip(SKIP_1) | instid1(VALU_DEP_4)
	v_fma_f32 v4, v4, v103, -v5
	v_add_f32_e32 v15, v16, v15
	v_add_f32_e32 v1, v2, v0
	v_mul_f32_e32 v7, v7, v106
	v_add_f32_e32 v13, v13, v14
	v_add_f32_e32 v12, v17, v12
	v_sub_f32_e32 v2, v2, v0
	s_delay_alu instid0(VALU_DEP_4) | instskip(SKIP_1) | instid1(VALU_DEP_4)
	v_fma_f32 v6, v6, v107, -v7
	v_add_f32_e32 v7, v18, v19
	v_sub_f32_e32 v23, v12, v13
	s_delay_alu instid0(VALU_DEP_2) | instskip(SKIP_2) | instid1(VALU_DEP_1)
	v_add_f32_e32 v7, v7, v20
	v_sub_f32_e32 v11, v20, v18
	v_mul_f32_e32 v9, v9, v110
	v_fma_f32 v5, v8, v111, -v9
	v_add_f32_e32 v8, v10, v4
	v_dual_sub_f32 v4, v4, v10 :: v_dual_sub_f32 v21, v18, v19
	s_delay_alu instid0(VALU_DEP_2) | instskip(SKIP_1) | instid1(VALU_DEP_3)
	v_dual_add_f32 v9, v5, v6 :: v_dual_sub_f32 v22, v8, v1
	v_sub_f32_e32 v5, v6, v5
	v_mul_f32_e32 v21, 0x3f08b237, v21
	v_mul_f32_e32 v6, 0x3f4a47b2, v23
	s_delay_alu instid0(VALU_DEP_4) | instskip(NEXT) | instid1(VALU_DEP_4)
	v_dual_sub_f32 v16, v1, v9 :: v_dual_mul_f32 v17, 0x3f4a47b2, v22
	v_sub_f32_e32 v10, v2, v5
	v_sub_f32_e32 v26, v4, v2
	v_fmamk_f32 v18, v11, 0xbeae86e6, v21
	s_delay_alu instid0(VALU_DEP_4) | instskip(SKIP_4) | instid1(VALU_DEP_2)
	v_mul_f32_e32 v22, 0x3d64c772, v16
	v_dual_add_f32 v3, v9, v8 :: v_dual_fmamk_f32 v16, v16, 0x3d64c772, v17
	v_mul_f32_e32 v10, 0x3f08b237, v10
	v_add_f32_e32 v2, v2, v5
	v_sub_f32_e32 v8, v9, v8
	v_dual_add_f32 v3, v1, v3 :: v_dual_add_f32 v2, v2, v4
	v_sub_f32_e32 v19, v19, v20
	s_delay_alu instid0(VALU_DEP_2) | instskip(SKIP_2) | instid1(VALU_DEP_3)
	v_dual_add_f32 v1, v101, v3 :: v_dual_fmamk_f32 v20, v26, 0xbeae86e6, v10
	v_sub_f32_e32 v5, v5, v4
	v_fma_f32 v4, 0xbf3bfb3b, v8, -v17
	v_fmamk_f32 v24, v3, 0xbf955555, v1
	v_add_f32_e32 v14, v15, v12
	v_fmac_f32_e32 v20, 0xbee1c552, v2
	s_delay_alu instid0(VALU_DEP_2) | instskip(NEXT) | instid1(VALU_DEP_4)
	v_add_f32_e32 v3, v13, v14
	v_dual_sub_f32 v13, v13, v15 :: v_dual_add_f32 v14, v16, v24
	s_delay_alu instid0(VALU_DEP_2) | instskip(SKIP_1) | instid1(VALU_DEP_3)
	v_add_f32_e32 v0, v100, v3
	v_fmac_f32_e32 v18, 0xbee1c552, v7
	v_dual_fmamk_f32 v16, v13, 0x3d64c772, v6 :: v_dual_mul_f32 v13, 0x3d64c772, v13
	s_delay_alu instid0(VALU_DEP_3) | instskip(NEXT) | instid1(VALU_DEP_3)
	v_fmamk_f32 v23, v3, 0xbf955555, v0
	v_add_f32_e32 v3, v18, v14
	v_dual_sub_f32 v9, v15, v12 :: v_dual_mul_f32 v12, 0xbf5ff5aa, v5
	v_add_f32_e32 v15, v4, v24
	v_fma_f32 v4, 0x3f3bfb3b, v8, -v22
	v_fma_f32 v8, 0xbf5ff5aa, v19, -v21
	s_delay_alu instid0(VALU_DEP_4) | instskip(SKIP_2) | instid1(VALU_DEP_4)
	v_fma_f32 v6, 0xbf3bfb3b, v9, -v6
	v_fma_f32 v12, 0x3eae86e6, v26, -v12
	v_add_f32_e32 v16, v16, v23
	v_fmac_f32_e32 v8, 0xbee1c552, v7
	s_delay_alu instid0(VALU_DEP_4) | instskip(NEXT) | instid1(VALU_DEP_4)
	v_add_f32_e32 v6, v6, v23
	v_fmac_f32_e32 v12, 0xbee1c552, v2
	v_mul_f32_e32 v27, 0xbf5ff5aa, v19
	v_fma_f32 v17, 0xbf5ff5aa, v5, -v10
	v_fma_f32 v5, 0x3f3bfb3b, v9, -v13
	v_add_f32_e32 v9, v4, v24
	v_sub_f32_e32 v4, v6, v12
	v_fma_f32 v11, 0x3eae86e6, v11, -v27
	v_lshl_add_u32 v19, v162, 3, v155
	v_dual_fmac_f32 v17, 0xbee1c552, v2 :: v_dual_add_f32 v2, v5, v23
	v_add_f32_e32 v10, v12, v6
	s_delay_alu instid0(VALU_DEP_4) | instskip(SKIP_3) | instid1(VALU_DEP_4)
	v_dual_add_f32 v12, v20, v16 :: v_dual_fmac_f32 v11, 0xbee1c552, v7
	v_sub_f32_e32 v7, v9, v8
	v_dual_sub_f32 v13, v14, v18 :: v_dual_add_nc_u32 v14, 0x2400, v19
	v_add_f32_e32 v9, v8, v9
	v_dual_sub_f32 v8, v2, v17 :: v_dual_add_f32 v5, v11, v15
	v_dual_add_f32 v6, v17, v2 :: v_dual_sub_f32 v11, v15, v11
	v_dual_sub_f32 v2, v16, v20 :: v_dual_add_nc_u32 v15, 0x2800, v19
	ds_store_2addr_b64 v14, v[0:1], v[12:13] offset0:122 offset1:135
	ds_store_2addr_b64 v15, v[10:11], v[8:9] offset0:20 offset1:33
	;; [unrolled: 1-line block ×3, first 2 shown]
	ds_store_b64 v19, v[2:3] offset:10816
.LBB0_21:
	s_wait_alu 0xfffe
	s_or_b32 exec_lo, exec_lo, s1
	v_add_nc_u32_e32 v6, 0x400, v153
	v_add_nc_u32_e32 v4, 0x1000, v153
	;; [unrolled: 1-line block ×4, first 2 shown]
	global_wb scope:SCOPE_SE
	s_wait_dscnt 0x0
	s_barrier_signal -1
	s_barrier_wait -1
	global_inv scope:SCOPE_SE
	ds_load_2addr_b64 v[7:10], v6 offset0:54 offset1:145
	ds_load_2addr_b64 v[11:14], v4 offset0:34 offset1:125
	;; [unrolled: 1-line block ×4, first 2 shown]
	v_add_nc_u32_e32 v5, 0x800, v153
	v_add_nc_u32_e32 v3, 0x1800, v153
	s_mov_b32 s2, 0x18018018
	s_mov_b32 s3, 0x3f480180
	s_wait_dscnt 0x2
	v_mul_f32_e32 v40, v55, v11
	ds_load_2addr_b64 v[26:29], v5 offset0:108 offset1:199
	s_wait_dscnt 0x1
	v_mul_f32_e32 v80, v47, v19
	ds_load_2addr_b64 v[30:33], v153 offset1:91
	ds_load_b64 v[23:24], v153 offset:10192
	ds_load_2addr_b64 v[34:37], v3 offset0:142 offset1:233
	v_mul_f32_e32 v1, v53, v10
	v_dual_mul_f32 v39, v55, v12 :: v_dual_mul_f32 v38, v53, v9
	v_mul_f32_e32 v41, v45, v18
	v_dual_mul_f32 v43, v47, v20 :: v_dual_mul_f32 v42, v45, v17
	s_delay_alu instid0(VALU_DEP_4) | instskip(NEXT) | instid1(VALU_DEP_4)
	v_fmac_f32_e32 v1, v52, v9
	v_fmac_f32_e32 v39, v54, v11
	v_fma_f32 v38, v52, v10, -v38
	v_fmac_f32_e32 v41, v44, v17
	v_fmac_f32_e32 v43, v46, v19
	v_fma_f32 v42, v44, v18, -v42
	v_fma_f32 v19, v46, v20, -v80
	v_mul_f32_e32 v11, v59, v15
	v_fma_f32 v40, v54, v12, -v40
	global_wb scope:SCOPE_SE
	s_wait_dscnt 0x0
	s_barrier_signal -1
	v_mul_f32_e32 v81, v53, v27
	v_mul_f32_e32 v9, v53, v26
	;; [unrolled: 1-line block ×5, first 2 shown]
	v_add_f32_e32 v20, v31, v38
	v_mul_f32_e32 v17, v51, v23
	v_fmac_f32_e32 v53, v44, v34
	v_fma_f32 v34, v44, v35, -v10
	v_dual_mul_f32 v44, v59, v16 :: v_dual_fmac_f32 v81, v52, v26
	v_mul_f32_e32 v35, v57, v29
	v_mul_f32_e32 v10, v57, v28
	v_sub_f32_e32 v12, v38, v19
	s_delay_alu instid0(VALU_DEP_4)
	v_fmac_f32_e32 v44, v58, v15
	v_fma_f32 v52, v52, v27, -v9
	v_mul_f32_e32 v27, v55, v14
	v_mul_f32_e32 v9, v55, v13
	v_fmac_f32_e32 v35, v56, v28
	v_fma_f32 v55, v58, v16, -v11
	v_add_f32_e32 v11, v30, v1
	v_fmac_f32_e32 v27, v54, v13
	v_fma_f32 v54, v54, v14, -v9
	v_sub_f32_e32 v13, v1, v39
	v_sub_f32_e32 v15, v43, v41
	v_mul_f32_e32 v9, v47, v21
	v_fma_f32 v47, v56, v29, -v10
	v_mul_f32_e32 v56, v49, v37
	v_mul_f32_e32 v10, v49, v36
	v_add_f32_e32 v18, v13, v15
	v_dual_add_f32 v16, v1, v43 :: v_dual_fmac_f32 v45, v46, v21
	v_sub_f32_e32 v14, v40, v42
	v_fmac_f32_e32 v56, v48, v36
	v_fma_f32 v48, v48, v37, -v10
	v_add_f32_e32 v10, v11, v39
	v_fma_f32 v46, v46, v22, -v9
	v_add_f32_e32 v9, v39, v41
	v_mul_f32_e32 v49, v51, v24
	v_fma_f32 v13, -0.5, v16, v30
	v_add_f32_e32 v10, v10, v41
	v_sub_f32_e32 v16, v41, v43
	v_fma_f32 v9, -0.5, v9, v30
	v_sub_f32_e32 v28, v52, v46
	s_delay_alu instid0(VALU_DEP_4) | instskip(SKIP_4) | instid1(VALU_DEP_4)
	v_dual_sub_f32 v22, v19, v42 :: v_dual_add_f32 v15, v10, v43
	v_dual_sub_f32 v10, v39, v1 :: v_dual_sub_f32 v1, v1, v43
	v_add_f32_e32 v21, v40, v42
	v_fmamk_f32 v11, v12, 0xbf737871, v9
	v_fmac_f32_e32 v9, 0x3f737871, v12
	v_add_f32_e32 v16, v10, v16
	v_sub_f32_e32 v26, v45, v53
	v_fma_f32 v10, -0.5, v21, v31
	v_fmac_f32_e32 v49, v50, v23
	v_fma_f32 v50, v50, v24, -v17
	v_dual_fmamk_f32 v17, v14, 0x3f737871, v13 :: v_dual_add_f32 v24, v32, v81
	v_fmac_f32_e32 v13, 0xbf737871, v14
	v_sub_f32_e32 v21, v38, v40
	v_add_f32_e32 v29, v81, v45
	s_barrier_wait -1
	global_inv scope:SCOPE_SE
	v_fmac_f32_e32 v13, 0x3f167918, v12
	v_add_f32_e32 v21, v21, v22
	v_sub_f32_e32 v22, v40, v38
	v_fmac_f32_e32 v9, 0x3f167918, v14
	v_fmac_f32_e32 v17, 0xbf167918, v12
	v_fmamk_f32 v12, v1, 0x3f737871, v10
	v_fmac_f32_e32 v10, 0xbf737871, v1
	v_dual_fmac_f32 v11, 0xbf167918, v14 :: v_dual_add_f32 v14, v20, v40
	s_delay_alu instid0(VALU_DEP_4) | instskip(SKIP_2) | instid1(VALU_DEP_3)
	v_dual_sub_f32 v20, v39, v41 :: v_dual_fmac_f32 v17, 0x3e9e377a, v16
	v_fmac_f32_e32 v13, 0x3e9e377a, v16
	v_dual_sub_f32 v36, v49, v56 :: v_dual_add_f32 v39, v8, v47
	v_fmac_f32_e32 v12, 0x3f167918, v20
	v_fmac_f32_e32 v10, 0xbf167918, v20
	;; [unrolled: 1-line block ×4, first 2 shown]
	v_add_f32_e32 v18, v14, v42
	v_add_f32_e32 v14, v38, v19
	v_sub_f32_e32 v40, v50, v48
	s_delay_alu instid0(VALU_DEP_3) | instskip(NEXT) | instid1(VALU_DEP_3)
	v_add_f32_e32 v16, v18, v19
	v_fma_f32 v14, -0.5, v14, v31
	s_delay_alu instid0(VALU_DEP_1) | instskip(SKIP_3) | instid1(VALU_DEP_4)
	v_fmamk_f32 v18, v20, 0xbf737871, v14
	v_fmac_f32_e32 v14, 0x3f737871, v20
	v_dual_fmac_f32 v10, 0x3e9e377a, v21 :: v_dual_sub_f32 v19, v42, v19
	v_add_f32_e32 v20, v24, v27
	v_fmac_f32_e32 v18, 0x3f167918, v1
	s_delay_alu instid0(VALU_DEP_4) | instskip(SKIP_4) | instid1(VALU_DEP_3)
	v_fmac_f32_e32 v14, 0xbf167918, v1
	v_fmac_f32_e32 v12, 0x3e9e377a, v21
	v_dual_add_f32 v22, v22, v19 :: v_dual_add_f32 v23, v27, v53
	v_dual_sub_f32 v24, v54, v34 :: v_dual_add_f32 v1, v20, v53
	v_sub_f32_e32 v20, v53, v45
	v_fmac_f32_e32 v14, 0x3e9e377a, v22
	s_delay_alu instid0(VALU_DEP_4)
	v_fma_f32 v19, -0.5, v23, v32
	v_fmac_f32_e32 v18, 0x3e9e377a, v22
	v_add_f32_e32 v22, v33, v52
	v_fma_f32 v32, -0.5, v29, v32
	v_sub_f32_e32 v23, v81, v27
	v_fmamk_f32 v21, v28, 0xbf737871, v19
	s_delay_alu instid0(VALU_DEP_4) | instskip(SKIP_1) | instid1(VALU_DEP_3)
	v_dual_fmac_f32 v19, 0x3f737871, v28 :: v_dual_add_f32 v22, v22, v54
	v_add_f32_e32 v29, v54, v34
	v_dual_add_f32 v30, v23, v26 :: v_dual_fmac_f32 v21, 0xbf167918, v24
	v_dual_add_f32 v23, v1, v45 :: v_dual_fmamk_f32 v26, v24, 0x3f737871, v32
	v_dual_fmac_f32 v32, 0xbf737871, v24 :: v_dual_sub_f32 v1, v27, v81
	v_dual_fmac_f32 v19, 0x3f167918, v24 :: v_dual_add_f32 v24, v22, v34
	s_delay_alu instid0(VALU_DEP_3) | instskip(NEXT) | instid1(VALU_DEP_3)
	v_fmac_f32_e32 v26, 0xbf167918, v28
	v_fmac_f32_e32 v32, 0x3f167918, v28
	s_delay_alu instid0(VALU_DEP_4) | instskip(SKIP_2) | instid1(VALU_DEP_3)
	v_dual_add_f32 v1, v1, v20 :: v_dual_add_f32 v28, v52, v46
	v_fmac_f32_e32 v21, 0x3e9e377a, v30
	v_dual_fmac_f32 v19, 0x3e9e377a, v30 :: v_dual_sub_f32 v30, v27, v53
	v_fmac_f32_e32 v32, 0x3e9e377a, v1
	v_fma_f32 v20, -0.5, v29, v33
	v_dual_sub_f32 v29, v81, v45 :: v_dual_add_f32 v24, v24, v46
	v_sub_f32_e32 v27, v52, v54
	v_dual_sub_f32 v31, v46, v34 :: v_dual_fmac_f32 v26, 0x3e9e377a, v1
	s_delay_alu instid0(VALU_DEP_3) | instskip(NEXT) | instid1(VALU_DEP_2)
	v_dual_fmamk_f32 v22, v29, 0x3f737871, v20 :: v_dual_fmac_f32 v33, -0.5, v28
	v_dual_fmac_f32 v20, 0xbf737871, v29 :: v_dual_add_f32 v1, v27, v31
	v_sub_f32_e32 v28, v54, v52
	s_delay_alu instid0(VALU_DEP_3) | instskip(NEXT) | instid1(VALU_DEP_4)
	v_fmac_f32_e32 v22, 0x3f167918, v30
	v_fmamk_f32 v27, v30, 0xbf737871, v33
	v_dual_sub_f32 v31, v34, v46 :: v_dual_add_f32 v34, v44, v56
	v_fmac_f32_e32 v33, 0x3f737871, v30
	s_delay_alu instid0(VALU_DEP_4) | instskip(NEXT) | instid1(VALU_DEP_3)
	v_fmac_f32_e32 v22, 0x3e9e377a, v1
	v_dual_fmac_f32 v20, 0xbf167918, v30 :: v_dual_add_f32 v31, v28, v31
	v_dual_fmac_f32 v27, 0x3f167918, v29 :: v_dual_add_f32 v30, v7, v35
	v_fma_f32 v28, -0.5, v34, v7
	s_delay_alu instid0(VALU_DEP_3) | instskip(NEXT) | instid1(VALU_DEP_3)
	v_dual_sub_f32 v37, v47, v50 :: v_dual_fmac_f32 v20, 0x3e9e377a, v1
	v_fmac_f32_e32 v27, 0x3e9e377a, v31
	s_delay_alu instid0(VALU_DEP_4) | instskip(SKIP_1) | instid1(VALU_DEP_4)
	v_add_f32_e32 v1, v30, v44
	v_sub_f32_e32 v34, v35, v44
	v_fmamk_f32 v30, v37, 0xbf737871, v28
	v_fmac_f32_e32 v33, 0xbf167918, v29
	v_dual_sub_f32 v29, v55, v48 :: v_dual_fmac_f32 v28, 0x3f737871, v37
	v_dual_add_f32 v38, v35, v49 :: v_dual_add_f32 v1, v1, v56
	v_add_f32_e32 v36, v34, v36
	s_delay_alu instid0(VALU_DEP_3) | instskip(NEXT) | instid1(VALU_DEP_4)
	v_fmac_f32_e32 v30, 0xbf167918, v29
	v_fmac_f32_e32 v28, 0x3f167918, v29
	s_delay_alu instid0(VALU_DEP_4)
	v_fma_f32 v7, -0.5, v38, v7
	v_dual_fmac_f32 v33, 0x3e9e377a, v31 :: v_dual_add_f32 v34, v1, v49
	v_add_f32_e32 v1, v55, v48
	v_dual_fmac_f32 v30, 0x3e9e377a, v36 :: v_dual_sub_f32 v31, v44, v35
	v_sub_f32_e32 v38, v56, v49
	v_fmac_f32_e32 v28, 0x3e9e377a, v36
	v_fmamk_f32 v36, v29, 0x3f737871, v7
	v_fmac_f32_e32 v7, 0xbf737871, v29
	v_fma_f32 v29, -0.5, v1, v8
	v_sub_f32_e32 v1, v35, v49
	v_add_f32_e32 v35, v31, v38
	s_delay_alu instid0(VALU_DEP_4) | instskip(SKIP_2) | instid1(VALU_DEP_3)
	v_dual_add_f32 v38, v47, v50 :: v_dual_fmac_f32 v7, 0x3f167918, v37
	v_dual_fmac_f32 v36, 0xbf167918, v37 :: v_dual_add_f32 v37, v39, v55
	v_sub_f32_e32 v39, v44, v56
	v_dual_fmamk_f32 v31, v1, 0x3f737871, v29 :: v_dual_fmac_f32 v8, -0.5, v38
	v_sub_f32_e32 v38, v47, v55
	v_fmac_f32_e32 v7, 0x3e9e377a, v35
	v_dual_fmac_f32 v36, 0x3e9e377a, v35 :: v_dual_add_f32 v35, v37, v48
	s_delay_alu instid0(VALU_DEP_4) | instskip(NEXT) | instid1(VALU_DEP_4)
	v_dual_fmac_f32 v31, 0x3f167918, v39 :: v_dual_sub_f32 v42, v48, v50
	v_dual_fmac_f32 v29, 0xbf737871, v1 :: v_dual_add_f32 v38, v38, v40
	v_fmamk_f32 v37, v39, 0xbf737871, v8
	v_fmac_f32_e32 v8, 0x3f737871, v39
	v_sub_f32_e32 v41, v55, v47
	s_delay_alu instid0(VALU_DEP_4) | instskip(SKIP_2) | instid1(VALU_DEP_4)
	v_fmac_f32_e32 v29, 0xbf167918, v39
	v_fmac_f32_e32 v31, 0x3e9e377a, v38
	;; [unrolled: 1-line block ×3, first 2 shown]
	v_dual_fmac_f32 v8, 0xbf167918, v1 :: v_dual_add_f32 v39, v41, v42
	v_add_f32_e32 v35, v35, v50
	v_add_nc_u32_e32 v1, 0x1800, v160
	v_fmac_f32_e32 v29, 0x3e9e377a, v38
	ds_store_2addr_b64 v153, v[15:16], v[11:12] offset1:91
	ds_store_2addr_b64 v6, v[17:18], v[13:14] offset0:54 offset1:145
	v_fmac_f32_e32 v37, 0x3e9e377a, v39
	v_fmac_f32_e32 v8, 0x3e9e377a, v39
	v_add_nc_u32_e32 v11, 0x2000, v160
	ds_store_2addr_b64 v5, v[9:10], v[23:24] offset0:108 offset1:199
	ds_store_2addr_b64 v4, v[21:22], v[26:27] offset0:34 offset1:125
	;; [unrolled: 1-line block ×5, first 2 shown]
	ds_store_b64 v160, v[28:29] offset:10192
	global_wb scope:SCOPE_SE
	s_wait_dscnt 0x0
	s_barrier_signal -1
	s_barrier_wait -1
	global_inv scope:SCOPE_SE
	ds_load_2addr_b64 v[7:10], v5 offset0:108 offset1:199
	ds_load_2addr_b64 v[11:14], v3 offset0:142 offset1:233
	;; [unrolled: 1-line block ×3, first 2 shown]
	ds_load_2addr_b64 v[19:22], v153 offset1:91
	ds_load_2addr_b64 v[26:29], v6 offset0:54 offset1:145
	ds_load_2addr_b64 v[30:33], v2 offset0:68 offset1:159
	ds_load_2addr_b64 v[34:37], v0 offset0:88 offset1:179
	ds_load_b64 v[0:1], v153 offset:10192
	s_wait_dscnt 0x7
	v_mul_f32_e32 v23, v77, v10
	v_mul_f32_e32 v24, v77, v9
	s_wait_dscnt 0x6
	v_mul_f32_e32 v38, v79, v12
	s_wait_dscnt 0x5
	v_dual_mul_f32 v40, v69, v18 :: v_dual_fmac_f32 v23, v76, v9
	v_fma_f32 v10, v76, v10, -v24
	v_mul_f32_e32 v24, v73, v16
	v_fmac_f32_e32 v38, v78, v11
	s_wait_dscnt 0x1
	v_mul_f32_e32 v42, v65, v35
	v_mul_f32_e32 v9, v79, v11
	;; [unrolled: 1-line block ×3, first 2 shown]
	v_fmac_f32_e32 v24, v72, v15
	s_delay_alu instid0(VALU_DEP_4) | instskip(NEXT) | instid1(VALU_DEP_4)
	v_dual_mul_f32 v41, v71, v31 :: v_dual_fmac_f32 v42, v64, v34
	v_fma_f32 v12, v78, v12, -v9
	v_mul_f32_e32 v9, v75, v13
	v_fma_f32 v15, v72, v16, -v11
	v_mul_f32_e32 v11, v69, v17
	v_dual_mul_f32 v39, v75, v14 :: v_dual_fmac_f32 v40, v68, v17
	s_delay_alu instid0(VALU_DEP_4) | instskip(SKIP_1) | instid1(VALU_DEP_4)
	v_fma_f32 v14, v74, v14, -v9
	v_mul_f32_e32 v9, v71, v30
	v_fma_f32 v18, v68, v18, -v11
	v_mul_f32_e32 v11, v65, v34
	v_fmac_f32_e32 v41, v70, v30
	v_sub_f32_e32 v16, v10, v12
	v_fma_f32 v30, v70, v31, -v9
	v_mul_f32_e32 v31, v67, v33
	v_mul_f32_e32 v9, v67, v32
	v_fma_f32 v34, v64, v35, -v11
	v_mul_f32_e32 v35, v61, v37
	v_mul_f32_e32 v11, v61, v36
	v_fmac_f32_e32 v31, v66, v32
	v_fma_f32 v32, v66, v33, -v9
	s_wait_dscnt 0x0
	v_mul_f32_e32 v33, v63, v1
	v_fmac_f32_e32 v35, v60, v36
	v_mul_f32_e32 v9, v63, v0
	v_fma_f32 v36, v60, v37, -v11
	v_add_f32_e32 v11, v23, v38
	v_fmac_f32_e32 v33, v62, v0
	v_add_f32_e32 v17, v21, v24
	v_fma_f32 v37, v62, v1, -v9
	v_add_f32_e32 v1, v10, v12
	v_fma_f32 v0, -0.5, v11, v19
	v_add_f32_e32 v10, v20, v10
	s_delay_alu instid0(VALU_DEP_3) | instskip(NEXT) | instid1(VALU_DEP_3)
	v_fma_f32 v1, -0.5, v1, v20
	v_fmamk_f32 v11, v16, 0xbf5db3d7, v0
	v_fmac_f32_e32 v0, 0x3f5db3d7, v16
	s_delay_alu instid0(VALU_DEP_4) | instskip(SKIP_3) | instid1(VALU_DEP_2)
	v_add_f32_e32 v10, v10, v12
	v_fmac_f32_e32 v39, v74, v13
	v_add_f32_e32 v13, v19, v23
	v_dual_add_f32 v19, v15, v14 :: v_dual_add_f32 v20, v26, v40
	v_dual_add_f32 v16, v24, v39 :: v_dual_add_f32 v9, v13, v38
	v_sub_f32_e32 v13, v23, v38
	v_add_f32_e32 v23, v18, v30
	v_add_f32_e32 v38, v34, v32
	s_delay_alu instid0(VALU_DEP_4)
	v_fma_f32 v21, -0.5, v16, v21
	v_sub_f32_e32 v16, v15, v14
	v_fmamk_f32 v12, v13, 0x3f5db3d7, v1
	v_fmac_f32_e32 v1, 0xbf5db3d7, v13
	v_add_f32_e32 v13, v17, v39
	v_add_f32_e32 v17, v22, v15
	v_fmac_f32_e32 v22, -0.5, v19
	v_sub_f32_e32 v19, v24, v39
	v_fmamk_f32 v15, v16, 0xbf5db3d7, v21
	s_delay_alu instid0(VALU_DEP_4) | instskip(SKIP_1) | instid1(VALU_DEP_4)
	v_dual_fmac_f32 v21, 0x3f5db3d7, v16 :: v_dual_add_f32 v14, v17, v14
	v_sub_f32_e32 v24, v18, v30
	v_dual_fmamk_f32 v16, v19, 0x3f5db3d7, v22 :: v_dual_add_f32 v17, v40, v41
	v_dual_fmac_f32 v22, 0xbf5db3d7, v19 :: v_dual_add_f32 v19, v20, v41
	v_add_f32_e32 v20, v27, v18
	v_fma_f32 v18, -0.5, v23, v27
	s_delay_alu instid0(VALU_DEP_4) | instskip(SKIP_1) | instid1(VALU_DEP_4)
	v_fma_f32 v17, -0.5, v17, v26
	v_dual_sub_f32 v26, v40, v41 :: v_dual_add_f32 v27, v42, v31
	v_add_f32_e32 v20, v20, v30
	v_add_f32_e32 v30, v28, v42
	s_delay_alu instid0(VALU_DEP_4) | instskip(NEXT) | instid1(VALU_DEP_4)
	v_fmamk_f32 v23, v24, 0xbf5db3d7, v17
	v_dual_fmac_f32 v17, 0x3f5db3d7, v24 :: v_dual_fmamk_f32 v24, v26, 0x3f5db3d7, v18
	v_fmac_f32_e32 v18, 0xbf5db3d7, v26
	v_fma_f32 v28, -0.5, v27, v28
	v_dual_sub_f32 v27, v34, v32 :: v_dual_add_f32 v34, v29, v34
	v_add_f32_e32 v39, v35, v33
	v_dual_fmac_f32 v29, -0.5, v38 :: v_dual_sub_f32 v38, v42, v31
	v_add_f32_e32 v40, v36, v37
	v_add_f32_e32 v26, v30, v31
	v_fmamk_f32 v30, v27, 0xbf5db3d7, v28
	v_dual_fmac_f32 v28, 0x3f5db3d7, v27 :: v_dual_add_f32 v27, v34, v32
	v_add_f32_e32 v32, v7, v35
	v_fma_f32 v7, -0.5, v39, v7
	v_sub_f32_e32 v39, v36, v37
	v_dual_add_f32 v36, v8, v36 :: v_dual_fmamk_f32 v31, v38, 0x3f5db3d7, v29
	v_dual_fmac_f32 v29, 0xbf5db3d7, v38 :: v_dual_fmac_f32 v8, -0.5, v40
	v_sub_f32_e32 v38, v35, v33
	v_add_f32_e32 v32, v32, v33
	s_delay_alu instid0(VALU_DEP_4)
	v_dual_add_f32 v33, v36, v37 :: v_dual_add_nc_u32 v36, 0xc00, v156
	v_add_nc_u32_e32 v37, 0x1800, v156
	v_fmamk_f32 v34, v39, 0xbf5db3d7, v7
	v_fmac_f32_e32 v7, 0x3f5db3d7, v39
	v_fmamk_f32 v35, v38, 0x3f5db3d7, v8
	v_fmac_f32_e32 v8, 0xbf5db3d7, v38
	ds_store_b64 v153, v[9:10]
	ds_store_2addr_b64 v36, v[11:12], v[15:16] offset0:71 offset1:162
	ds_store_2addr_b64 v37, v[0:1], v[21:22] offset0:142 offset1:233
	;; [unrolled: 1-line block ×3, first 2 shown]
	ds_store_b64 v115, v[23:24] offset:3640
	ds_store_b64 v115, v[17:18] offset:7280
	;; [unrolled: 1-line block ×8, first 2 shown]
	global_wb scope:SCOPE_SE
	s_wait_dscnt 0x0
	s_barrier_signal -1
	s_barrier_wait -1
	global_inv scope:SCOPE_SE
	ds_load_2addr_b64 v[7:10], v153 offset1:105
	v_mad_co_u64_u32 v[25:26], null, s4, v154, 0
	s_wait_dscnt 0x0
	v_mul_f32_e32 v0, v146, v8
	v_mul_f32_e32 v1, v146, v7
	s_delay_alu instid0(VALU_DEP_2) | instskip(NEXT) | instid1(VALU_DEP_2)
	v_dual_mul_f32 v13, v148, v10 :: v_dual_fmac_f32 v0, v145, v7
	v_fma_f32 v8, v145, v8, -v1
	v_mul_f32_e32 v7, v148, v9
	s_delay_alu instid0(VALU_DEP_3) | instskip(NEXT) | instid1(VALU_DEP_4)
	v_fmac_f32_e32 v13, v147, v9
	v_cvt_f64_f32_e32 v[0:1], v0
	s_delay_alu instid0(VALU_DEP_4) | instskip(NEXT) | instid1(VALU_DEP_4)
	v_cvt_f64_f32_e32 v[11:12], v8
	v_fma_f32 v7, v147, v10, -v7
	s_delay_alu instid0(VALU_DEP_4) | instskip(NEXT) | instid1(VALU_DEP_2)
	v_cvt_f64_f32_e32 v[13:14], v13
	v_cvt_f64_f32_e32 v[15:16], v7
	ds_load_2addr_b64 v[7:10], v6 offset0:82 offset1:187
	s_wait_dscnt 0x0
	v_mul_f32_e32 v21, v144, v8
	v_mul_f32_e32 v22, v144, v7
	s_delay_alu instid0(VALU_DEP_2)
	v_fmac_f32_e32 v21, v143, v7
	s_wait_alu 0xfffe
	v_mul_f64_e32 v[0:1], s[2:3], v[0:1]
	v_mul_f64_e32 v[17:18], s[2:3], v[11:12]
	v_fma_f32 v11, v143, v8, -v22
	v_mul_f64_e32 v[19:20], s[2:3], v[13:14]
	v_cvt_f64_f32_e32 v[21:22], v21
	v_dual_mov_b32 v12, v26 :: v_dual_add_nc_u32 v13, 0xc00, v153
	v_mul_f64_e32 v[7:8], s[2:3], v[15:16]
	v_mad_co_u64_u32 v[15:16], null, s6, v130, 0
	v_cvt_f64_f32_e32 v[23:24], v11
	s_delay_alu instid0(VALU_DEP_2) | instskip(NEXT) | instid1(VALU_DEP_1)
	v_mov_b32_e32 v11, v16
	v_mad_co_u64_u32 v[26:27], null, s7, v130, v[11:12]
	v_mad_co_u64_u32 v[27:28], null, s5, v154, v[12:13]
	ds_load_2addr_b64 v[11:14], v13 offset0:36 offset1:141
	s_mul_u64 s[6:7], s[4:5], 0x69
	s_wait_alu 0xfffe
	s_lshl_b64 s[6:7], s[6:7], 3
	v_mov_b32_e32 v16, v26
	v_mov_b32_e32 v26, v27
	s_delay_alu instid0(VALU_DEP_2) | instskip(NEXT) | instid1(VALU_DEP_2)
	v_lshlrev_b64_e32 v[27:28], 3, v[15:16]
	v_lshlrev_b64_e32 v[25:26], 3, v[25:26]
	v_cvt_f32_f64_e32 v0, v[0:1]
	v_cvt_f32_f64_e32 v1, v[17:18]
	ds_load_2addr_b64 v[15:18], v4 offset0:118 offset1:223
	v_cvt_f32_f64_e32 v29, v[19:20]
	v_mul_f64_e32 v[31:32], s[2:3], v[21:22]
	v_add_co_u32 v57, s0, s10, v27
	v_cvt_f32_f64_e32 v30, v[7:8]
	v_mul_f32_e32 v7, v140, v10
	s_wait_dscnt 0x1
	v_dual_mul_f32 v8, v140, v9 :: v_dual_mul_f32 v19, v142, v12
	v_mul_f32_e32 v20, v127, v14
	v_mul_f64_e32 v[23:24], s[2:3], v[23:24]
	v_fmac_f32_e32 v7, v139, v9
	v_mul_f32_e32 v9, v142, v11
	s_delay_alu instid0(VALU_DEP_4) | instskip(SKIP_1) | instid1(VALU_DEP_4)
	v_dual_fmac_f32 v19, v141, v11 :: v_dual_fmac_f32 v20, v126, v13
	v_fma_f32 v8, v139, v10, -v8
	v_cvt_f64_f32_e32 v[33:34], v7
	s_delay_alu instid0(VALU_DEP_4) | instskip(NEXT) | instid1(VALU_DEP_4)
	v_fma_f32 v21, v141, v12, -v9
	v_cvt_f64_f32_e32 v[35:36], v19
	v_cvt_f64_f32_e32 v[39:40], v20
	s_wait_dscnt 0x0
	v_dual_mul_f32 v44, v134, v17 :: v_dual_mul_f32 v41, v132, v16
	v_dual_mul_f32 v42, v132, v15 :: v_dual_mul_f32 v43, v134, v18
	v_cvt_f64_f32_e32 v[37:38], v21
	ds_load_2addr_b64 v[19:22], v2 offset0:26 offset1:131
	v_fmac_f32_e32 v41, v131, v15
	v_fma_f32 v42, v131, v16, -v42
	v_fmac_f32_e32 v43, v133, v17
	v_cvt_f64_f32_e32 v[11:12], v8
	ds_load_2addr_b64 v[7:10], v3 offset0:72 offset1:177
	v_mul_f32_e32 v13, v127, v13
	v_fma_f32 v45, v133, v18, -v44
	v_cvt_f64_f32_e32 v[15:16], v41
	v_cvt_f64_f32_e32 v[17:18], v42
	;; [unrolled: 1-line block ×3, first 2 shown]
	ds_load_b64 v[43:44], v153 offset:10080
	v_fma_f32 v13, v126, v14, -v13
	v_cvt_f64_f32_e32 v[45:46], v45
	s_wait_alu 0xf1ff
	v_add_co_ci_u32_e64 v58, s0, s11, v28, s0
	v_add_co_u32 v25, s0, v57, v25
	v_cvt_f64_f32_e32 v[13:14], v13
	s_wait_alu 0xf1ff
	s_delay_alu instid0(VALU_DEP_3)
	v_add_co_ci_u32_e64 v26, s0, v58, v26, s0
	s_wait_dscnt 0x2
	v_mul_f32_e32 v51, v125, v20
	v_mul_f32_e32 v53, v136, v22
	;; [unrolled: 1-line block ×3, first 2 shown]
	v_cvt_f32_f64_e32 v31, v[31:32]
	s_wait_dscnt 0x1
	v_mul_f32_e32 v47, v123, v8
	v_dual_mul_f32 v48, v123, v7 :: v_dual_mul_f32 v49, v129, v10
	v_dual_mul_f32 v50, v129, v9 :: v_dual_fmac_f32 v51, v124, v19
	v_mul_f32_e32 v19, v125, v19
	s_wait_dscnt 0x0
	v_mul_f32_e32 v55, v138, v44
	v_mul_f32_e32 v56, v138, v43
	v_fmac_f32_e32 v47, v122, v7
	v_fma_f32 v48, v122, v8, -v48
	v_fmac_f32_e32 v49, v128, v9
	v_fma_f32 v50, v128, v10, -v50
	v_fma_f32 v19, v124, v20, -v19
	v_fmac_f32_e32 v53, v135, v21
	v_fma_f32 v54, v135, v22, -v54
	v_fmac_f32_e32 v55, v137, v43
	v_fma_f32 v56, v137, v44, -v56
	v_cvt_f64_f32_e32 v[7:8], v47
	v_cvt_f64_f32_e32 v[9:10], v48
	v_cvt_f64_f32_e32 v[47:48], v49
	v_cvt_f64_f32_e32 v[49:50], v50
	v_cvt_f64_f32_e32 v[51:52], v51
	v_cvt_f64_f32_e32 v[19:20], v19
	v_cvt_f64_f32_e32 v[21:22], v53
	v_cvt_f64_f32_e32 v[43:44], v54
	v_cvt_f64_f32_e32 v[53:54], v55
	v_cvt_f64_f32_e32 v[55:56], v56
	v_mul_f64_e32 v[27:28], s[2:3], v[33:34]
	v_mul_f64_e32 v[11:12], s[2:3], v[11:12]
	;; [unrolled: 1-line block ×6, first 2 shown]
	s_wait_alu 0xfffe
	v_add_co_u32 v37, s0, v25, s6
	v_mul_f64_e32 v[15:16], s[2:3], v[15:16]
	v_mul_f64_e32 v[17:18], s[2:3], v[17:18]
	s_wait_alu 0xf1ff
	v_add_co_ci_u32_e64 v38, s0, s7, v26, s0
	s_clause 0x1
	global_store_b64 v[25:26], v[0:1], off
	global_store_b64 v[37:38], v[29:30], off
	v_mul_f64_e32 v[0:1], s[2:3], v[41:42]
	v_mul_f64_e32 v[25:26], s[2:3], v[45:46]
	v_cvt_f32_f64_e32 v32, v[23:24]
	v_add_co_u32 v23, s0, v37, s6
	s_wait_alu 0xf1ff
	v_add_co_ci_u32_e64 v24, s0, s7, v38, s0
	v_mul_f64_e32 v[7:8], s[2:3], v[7:8]
	v_mul_f64_e32 v[9:10], s[2:3], v[9:10]
	v_mul_f64_e32 v[29:30], s[2:3], v[47:48]
	v_mul_f64_e32 v[41:42], s[2:3], v[49:50]
	v_mul_f64_e32 v[45:46], s[2:3], v[51:52]
	v_mul_f64_e32 v[19:20], s[2:3], v[19:20]
	v_mul_f64_e32 v[21:22], s[2:3], v[21:22]
	v_mul_f64_e32 v[43:44], s[2:3], v[43:44]
	v_mul_f64_e32 v[47:48], s[2:3], v[53:54]
	v_mul_f64_e32 v[49:50], s[2:3], v[55:56]
	v_cvt_f32_f64_e32 v27, v[27:28]
	v_cvt_f32_f64_e32 v28, v[11:12]
	;; [unrolled: 1-line block ×6, first 2 shown]
	v_add_co_u32 v11, s0, v23, s6
	s_wait_alu 0xf1ff
	v_add_co_ci_u32_e64 v12, s0, s7, v24, s0
	v_cvt_f32_f64_e32 v13, v[15:16]
	v_cvt_f32_f64_e32 v14, v[17:18]
	v_add_co_u32 v35, s0, v11, s6
	s_wait_alu 0xf1ff
	v_add_co_ci_u32_e64 v36, s0, s7, v12, s0
	v_cvt_f32_f64_e32 v0, v[0:1]
	v_cvt_f32_f64_e32 v1, v[25:26]
	v_add_co_u32 v15, s0, v35, s6
	s_wait_alu 0xf1ff
	v_add_co_ci_u32_e64 v16, s0, s7, v36, s0
	global_store_b64 v[23:24], v[31:32], off
	v_add_co_u32 v25, s0, v15, s6
	s_wait_alu 0xf1ff
	v_add_co_ci_u32_e64 v26, s0, s7, v16, s0
	v_cvt_f32_f64_e32 v7, v[7:8]
	v_cvt_f32_f64_e32 v8, v[9:10]
	;; [unrolled: 1-line block ×10, first 2 shown]
	v_add_co_u32 v23, s0, v25, s6
	s_wait_alu 0xf1ff
	v_add_co_ci_u32_e64 v24, s0, s7, v26, s0
	global_store_b64 v[11:12], v[27:28], off
	v_add_co_u32 v11, s0, v23, s6
	s_wait_alu 0xf1ff
	v_add_co_ci_u32_e64 v12, s0, s7, v24, s0
	global_store_b64 v[35:36], v[33:34], off
	;; [unrolled: 4-line block ×6, first 2 shown]
	global_store_b64 v[27:28], v[9:10], off
	global_store_b64 v[15:16], v[17:18], off
	;; [unrolled: 1-line block ×4, first 2 shown]
	s_and_b32 exec_lo, exec_lo, vcc_lo
	s_cbranch_execz .LBB0_23
; %bb.22:
	global_load_b64 v[7:8], v[120:121], off offset:728
	ds_load_b64 v[9:10], v156 offset:728
	v_mad_co_u64_u32 v[0:1], null, 0xffffdb78, s4, v[0:1]
	s_mul_i32 s0, s5, 0xffffdb78
	s_wait_alu 0xfffe
	s_sub_co_i32 s0, s0, s4
	s_wait_alu 0xfffe
	s_delay_alu instid0(VALU_DEP_1) | instskip(SKIP_3) | instid1(VALU_DEP_2)
	v_add_nc_u32_e32 v1, s0, v1
	s_wait_loadcnt_dscnt 0x0
	v_mul_f32_e32 v11, v10, v8
	v_mul_f32_e32 v8, v9, v8
	v_fmac_f32_e32 v11, v9, v7
	s_delay_alu instid0(VALU_DEP_2) | instskip(NEXT) | instid1(VALU_DEP_2)
	v_fma_f32 v9, v7, v10, -v8
	v_cvt_f64_f32_e32 v[7:8], v11
	s_delay_alu instid0(VALU_DEP_2) | instskip(NEXT) | instid1(VALU_DEP_2)
	v_cvt_f64_f32_e32 v[9:10], v9
	v_mul_f64_e32 v[7:8], s[2:3], v[7:8]
	s_delay_alu instid0(VALU_DEP_2) | instskip(NEXT) | instid1(VALU_DEP_2)
	v_mul_f64_e32 v[9:10], s[2:3], v[9:10]
	v_cvt_f32_f64_e32 v7, v[7:8]
	s_delay_alu instid0(VALU_DEP_2)
	v_cvt_f32_f64_e32 v8, v[9:10]
	global_store_b64 v[0:1], v[7:8], off
	global_load_b64 v[10:11], v[120:121], off offset:1568
	ds_load_2addr_b64 v[6:9], v6 offset0:68 offset1:173
	v_add_co_u32 v0, vcc_lo, v0, s6
	s_wait_alu 0xfffd
	v_add_co_ci_u32_e32 v1, vcc_lo, s7, v1, vcc_lo
	s_wait_loadcnt_dscnt 0x0
	v_mul_f32_e32 v12, v7, v11
	v_mul_f32_e32 v11, v6, v11
	s_delay_alu instid0(VALU_DEP_2) | instskip(NEXT) | instid1(VALU_DEP_2)
	v_fmac_f32_e32 v12, v6, v10
	v_fma_f32 v10, v10, v7, -v11
	s_delay_alu instid0(VALU_DEP_2) | instskip(NEXT) | instid1(VALU_DEP_2)
	v_cvt_f64_f32_e32 v[6:7], v12
	v_cvt_f64_f32_e32 v[10:11], v10
	s_delay_alu instid0(VALU_DEP_2) | instskip(NEXT) | instid1(VALU_DEP_2)
	v_mul_f64_e32 v[6:7], s[2:3], v[6:7]
	v_mul_f64_e32 v[10:11], s[2:3], v[10:11]
	s_delay_alu instid0(VALU_DEP_2) | instskip(NEXT) | instid1(VALU_DEP_2)
	v_cvt_f32_f64_e32 v6, v[6:7]
	v_cvt_f32_f64_e32 v7, v[10:11]
	global_store_b64 v[0:1], v[6:7], off
	global_load_b64 v[6:7], v[120:121], off offset:2408
	v_add_co_u32 v0, vcc_lo, v0, s6
	s_wait_alu 0xfffd
	v_add_co_ci_u32_e32 v1, vcc_lo, s7, v1, vcc_lo
	s_wait_loadcnt 0x0
	v_mul_f32_e32 v10, v9, v7
	v_mul_f32_e32 v7, v8, v7
	s_delay_alu instid0(VALU_DEP_2) | instskip(NEXT) | instid1(VALU_DEP_2)
	v_fmac_f32_e32 v10, v8, v6
	v_fma_f32 v8, v6, v9, -v7
	s_delay_alu instid0(VALU_DEP_2) | instskip(NEXT) | instid1(VALU_DEP_2)
	v_cvt_f64_f32_e32 v[6:7], v10
	v_cvt_f64_f32_e32 v[8:9], v8
	s_delay_alu instid0(VALU_DEP_2) | instskip(NEXT) | instid1(VALU_DEP_2)
	v_mul_f64_e32 v[6:7], s[2:3], v[6:7]
	v_mul_f64_e32 v[8:9], s[2:3], v[8:9]
	s_delay_alu instid0(VALU_DEP_2) | instskip(NEXT) | instid1(VALU_DEP_2)
	v_cvt_f32_f64_e32 v6, v[6:7]
	v_cvt_f32_f64_e32 v7, v[8:9]
	global_store_b64 v[0:1], v[6:7], off
	global_load_b64 v[9:10], v[120:121], off offset:3248
	ds_load_2addr_b64 v[5:8], v5 offset0:150 offset1:255
	v_add_co_u32 v0, vcc_lo, v0, s6
	s_wait_alu 0xfffd
	v_add_co_ci_u32_e32 v1, vcc_lo, s7, v1, vcc_lo
	s_wait_loadcnt_dscnt 0x0
	v_mul_f32_e32 v11, v6, v10
	v_mul_f32_e32 v10, v5, v10
	s_delay_alu instid0(VALU_DEP_2) | instskip(NEXT) | instid1(VALU_DEP_2)
	v_fmac_f32_e32 v11, v5, v9
	v_fma_f32 v9, v9, v6, -v10
	s_delay_alu instid0(VALU_DEP_2) | instskip(NEXT) | instid1(VALU_DEP_2)
	v_cvt_f64_f32_e32 v[5:6], v11
	v_cvt_f64_f32_e32 v[9:10], v9
	s_delay_alu instid0(VALU_DEP_2) | instskip(NEXT) | instid1(VALU_DEP_2)
	v_mul_f64_e32 v[5:6], s[2:3], v[5:6]
	v_mul_f64_e32 v[9:10], s[2:3], v[9:10]
	s_delay_alu instid0(VALU_DEP_2) | instskip(NEXT) | instid1(VALU_DEP_2)
	v_cvt_f32_f64_e32 v5, v[5:6]
	v_cvt_f32_f64_e32 v6, v[9:10]
	global_store_b64 v[0:1], v[5:6], off
	global_load_b64 v[5:6], v[120:121], off offset:4088
	v_add_co_u32 v0, vcc_lo, v0, s6
	s_wait_alu 0xfffd
	v_add_co_ci_u32_e32 v1, vcc_lo, s7, v1, vcc_lo
	s_wait_loadcnt 0x0
	v_mul_f32_e32 v9, v8, v6
	v_mul_f32_e32 v6, v7, v6
	s_delay_alu instid0(VALU_DEP_2) | instskip(NEXT) | instid1(VALU_DEP_2)
	v_fmac_f32_e32 v9, v7, v5
	v_fma_f32 v7, v5, v8, -v6
	s_delay_alu instid0(VALU_DEP_2) | instskip(NEXT) | instid1(VALU_DEP_2)
	v_cvt_f64_f32_e32 v[5:6], v9
	v_cvt_f64_f32_e32 v[7:8], v7
	s_delay_alu instid0(VALU_DEP_2) | instskip(NEXT) | instid1(VALU_DEP_2)
	v_mul_f64_e32 v[5:6], s[2:3], v[5:6]
	v_mul_f64_e32 v[7:8], s[2:3], v[7:8]
	s_delay_alu instid0(VALU_DEP_2) | instskip(NEXT) | instid1(VALU_DEP_2)
	v_cvt_f32_f64_e32 v5, v[5:6]
	;; [unrolled: 41-line block ×3, first 2 shown]
	v_cvt_f32_f64_e32 v5, v[6:7]
	global_store_b64 v[0:1], v[4:5], off
	global_load_b64 v[7:8], v[120:121], off offset:6608
	ds_load_2addr_b64 v[3:6], v3 offset0:58 offset1:163
	v_add_co_u32 v0, vcc_lo, v0, s6
	s_wait_alu 0xfffd
	v_add_co_ci_u32_e32 v1, vcc_lo, s7, v1, vcc_lo
	s_wait_loadcnt_dscnt 0x0
	v_mul_f32_e32 v9, v4, v8
	v_mul_f32_e32 v8, v3, v8
	s_delay_alu instid0(VALU_DEP_2) | instskip(NEXT) | instid1(VALU_DEP_2)
	v_fmac_f32_e32 v9, v3, v7
	v_fma_f32 v7, v7, v4, -v8
	s_delay_alu instid0(VALU_DEP_2) | instskip(NEXT) | instid1(VALU_DEP_2)
	v_cvt_f64_f32_e32 v[3:4], v9
	v_cvt_f64_f32_e32 v[7:8], v7
	s_delay_alu instid0(VALU_DEP_2) | instskip(NEXT) | instid1(VALU_DEP_2)
	v_mul_f64_e32 v[3:4], s[2:3], v[3:4]
	v_mul_f64_e32 v[7:8], s[2:3], v[7:8]
	s_delay_alu instid0(VALU_DEP_2) | instskip(NEXT) | instid1(VALU_DEP_2)
	v_cvt_f32_f64_e32 v3, v[3:4]
	v_cvt_f32_f64_e32 v4, v[7:8]
	global_store_b64 v[0:1], v[3:4], off
	global_load_b64 v[3:4], v[120:121], off offset:7448
	s_wait_loadcnt 0x0
	v_mul_f32_e32 v7, v6, v4
	v_mul_f32_e32 v4, v5, v4
	s_delay_alu instid0(VALU_DEP_2) | instskip(NEXT) | instid1(VALU_DEP_2)
	v_fmac_f32_e32 v7, v5, v3
	v_fma_f32 v5, v3, v6, -v4
	s_delay_alu instid0(VALU_DEP_2) | instskip(NEXT) | instid1(VALU_DEP_2)
	v_cvt_f64_f32_e32 v[3:4], v7
	v_cvt_f64_f32_e32 v[5:6], v5
	s_delay_alu instid0(VALU_DEP_2) | instskip(NEXT) | instid1(VALU_DEP_2)
	v_mul_f64_e32 v[3:4], s[2:3], v[3:4]
	v_mul_f64_e32 v[5:6], s[2:3], v[5:6]
	s_delay_alu instid0(VALU_DEP_2) | instskip(NEXT) | instid1(VALU_DEP_2)
	v_cvt_f32_f64_e32 v3, v[3:4]
	v_cvt_f32_f64_e32 v4, v[5:6]
	v_add_co_u32 v5, vcc_lo, v0, s6
	s_wait_alu 0xfffd
	v_add_co_ci_u32_e32 v6, vcc_lo, s7, v1, vcc_lo
	global_store_b64 v[5:6], v[3:4], off
	global_load_b64 v[7:8], v[120:121], off offset:8288
	ds_load_2addr_b64 v[0:3], v2 offset0:12 offset1:117
	s_wait_loadcnt_dscnt 0x0
	v_mul_f32_e32 v4, v1, v8
	v_mul_f32_e32 v8, v0, v8
	s_delay_alu instid0(VALU_DEP_2) | instskip(NEXT) | instid1(VALU_DEP_2)
	v_fmac_f32_e32 v4, v0, v7
	v_fma_f32 v7, v7, v1, -v8
	s_delay_alu instid0(VALU_DEP_2) | instskip(NEXT) | instid1(VALU_DEP_2)
	v_cvt_f64_f32_e32 v[0:1], v4
	v_cvt_f64_f32_e32 v[7:8], v7
	v_add_co_u32 v4, vcc_lo, v5, s6
	s_wait_alu 0xfffd
	v_add_co_ci_u32_e32 v5, vcc_lo, s7, v6, vcc_lo
	s_delay_alu instid0(VALU_DEP_4) | instskip(NEXT) | instid1(VALU_DEP_4)
	v_mul_f64_e32 v[0:1], s[2:3], v[0:1]
	v_mul_f64_e32 v[7:8], s[2:3], v[7:8]
	s_delay_alu instid0(VALU_DEP_2) | instskip(NEXT) | instid1(VALU_DEP_2)
	v_cvt_f32_f64_e32 v0, v[0:1]
	v_cvt_f32_f64_e32 v1, v[7:8]
	global_store_b64 v[4:5], v[0:1], off
	global_load_b64 v[0:1], v[120:121], off offset:9128
	v_add_co_u32 v4, vcc_lo, v4, s6
	s_wait_alu 0xfffd
	v_add_co_ci_u32_e32 v5, vcc_lo, s7, v5, vcc_lo
	s_wait_loadcnt 0x0
	v_mul_f32_e32 v6, v3, v1
	v_mul_f32_e32 v1, v2, v1
	s_delay_alu instid0(VALU_DEP_2) | instskip(NEXT) | instid1(VALU_DEP_2)
	v_fmac_f32_e32 v6, v2, v0
	v_fma_f32 v2, v0, v3, -v1
	s_delay_alu instid0(VALU_DEP_2) | instskip(NEXT) | instid1(VALU_DEP_2)
	v_cvt_f64_f32_e32 v[0:1], v6
	v_cvt_f64_f32_e32 v[2:3], v2
	s_delay_alu instid0(VALU_DEP_2) | instskip(NEXT) | instid1(VALU_DEP_2)
	v_mul_f64_e32 v[0:1], s[2:3], v[0:1]
	v_mul_f64_e32 v[2:3], s[2:3], v[2:3]
	s_delay_alu instid0(VALU_DEP_2) | instskip(NEXT) | instid1(VALU_DEP_2)
	v_cvt_f32_f64_e32 v0, v[0:1]
	v_cvt_f32_f64_e32 v1, v[2:3]
	global_store_b64 v[4:5], v[0:1], off
	global_load_b64 v[6:7], v[120:121], off offset:9968
	v_add_nc_u32_e32 v0, 0x2400, v153
	v_add_co_u32 v4, vcc_lo, v4, s6
	s_wait_alu 0xfffd
	v_add_co_ci_u32_e32 v5, vcc_lo, s7, v5, vcc_lo
	ds_load_2addr_b64 v[0:3], v0 offset0:94 offset1:199
	s_wait_loadcnt_dscnt 0x0
	v_mul_f32_e32 v8, v1, v7
	v_mul_f32_e32 v7, v0, v7
	s_delay_alu instid0(VALU_DEP_2) | instskip(NEXT) | instid1(VALU_DEP_2)
	v_fmac_f32_e32 v8, v0, v6
	v_fma_f32 v6, v6, v1, -v7
	s_delay_alu instid0(VALU_DEP_2) | instskip(NEXT) | instid1(VALU_DEP_2)
	v_cvt_f64_f32_e32 v[0:1], v8
	v_cvt_f64_f32_e32 v[6:7], v6
	s_delay_alu instid0(VALU_DEP_2) | instskip(NEXT) | instid1(VALU_DEP_2)
	v_mul_f64_e32 v[0:1], s[2:3], v[0:1]
	v_mul_f64_e32 v[6:7], s[2:3], v[6:7]
	s_delay_alu instid0(VALU_DEP_2) | instskip(NEXT) | instid1(VALU_DEP_2)
	v_cvt_f32_f64_e32 v0, v[0:1]
	v_cvt_f32_f64_e32 v1, v[6:7]
	global_store_b64 v[4:5], v[0:1], off
	global_load_b64 v[0:1], v[120:121], off offset:10808
	s_wait_loadcnt 0x0
	v_mul_f32_e32 v6, v3, v1
	v_mul_f32_e32 v1, v2, v1
	s_delay_alu instid0(VALU_DEP_2) | instskip(NEXT) | instid1(VALU_DEP_2)
	v_fmac_f32_e32 v6, v2, v0
	v_fma_f32 v2, v0, v3, -v1
	s_delay_alu instid0(VALU_DEP_2) | instskip(NEXT) | instid1(VALU_DEP_2)
	v_cvt_f64_f32_e32 v[0:1], v6
	v_cvt_f64_f32_e32 v[2:3], v2
	s_delay_alu instid0(VALU_DEP_2) | instskip(NEXT) | instid1(VALU_DEP_2)
	v_mul_f64_e32 v[0:1], s[2:3], v[0:1]
	v_mul_f64_e32 v[2:3], s[2:3], v[2:3]
	s_delay_alu instid0(VALU_DEP_2) | instskip(NEXT) | instid1(VALU_DEP_2)
	v_cvt_f32_f64_e32 v0, v[0:1]
	v_cvt_f32_f64_e32 v1, v[2:3]
	v_add_co_u32 v2, vcc_lo, v4, s6
	s_wait_alu 0xfffd
	v_add_co_ci_u32_e32 v3, vcc_lo, s7, v5, vcc_lo
	global_store_b64 v[2:3], v[0:1], off
.LBB0_23:
	s_nop 0
	s_sendmsg sendmsg(MSG_DEALLOC_VGPRS)
	s_endpgm
	.section	.rodata,"a",@progbits
	.p2align	6, 0x0
	.amdhsa_kernel bluestein_single_fwd_len1365_dim1_sp_op_CI_CI
		.amdhsa_group_segment_fixed_size 21840
		.amdhsa_private_segment_fixed_size 0
		.amdhsa_kernarg_size 104
		.amdhsa_user_sgpr_count 2
		.amdhsa_user_sgpr_dispatch_ptr 0
		.amdhsa_user_sgpr_queue_ptr 0
		.amdhsa_user_sgpr_kernarg_segment_ptr 1
		.amdhsa_user_sgpr_dispatch_id 0
		.amdhsa_user_sgpr_private_segment_size 0
		.amdhsa_wavefront_size32 1
		.amdhsa_uses_dynamic_stack 0
		.amdhsa_enable_private_segment 0
		.amdhsa_system_sgpr_workgroup_id_x 1
		.amdhsa_system_sgpr_workgroup_id_y 0
		.amdhsa_system_sgpr_workgroup_id_z 0
		.amdhsa_system_sgpr_workgroup_info 0
		.amdhsa_system_vgpr_workitem_id 0
		.amdhsa_next_free_vgpr 255
		.amdhsa_next_free_sgpr 16
		.amdhsa_reserve_vcc 1
		.amdhsa_float_round_mode_32 0
		.amdhsa_float_round_mode_16_64 0
		.amdhsa_float_denorm_mode_32 3
		.amdhsa_float_denorm_mode_16_64 3
		.amdhsa_fp16_overflow 0
		.amdhsa_workgroup_processor_mode 1
		.amdhsa_memory_ordered 1
		.amdhsa_forward_progress 0
		.amdhsa_round_robin_scheduling 0
		.amdhsa_exception_fp_ieee_invalid_op 0
		.amdhsa_exception_fp_denorm_src 0
		.amdhsa_exception_fp_ieee_div_zero 0
		.amdhsa_exception_fp_ieee_overflow 0
		.amdhsa_exception_fp_ieee_underflow 0
		.amdhsa_exception_fp_ieee_inexact 0
		.amdhsa_exception_int_div_zero 0
	.end_amdhsa_kernel
	.text
.Lfunc_end0:
	.size	bluestein_single_fwd_len1365_dim1_sp_op_CI_CI, .Lfunc_end0-bluestein_single_fwd_len1365_dim1_sp_op_CI_CI
                                        ; -- End function
	.section	.AMDGPU.csdata,"",@progbits
; Kernel info:
; codeLenInByte = 29052
; NumSgprs: 18
; NumVgprs: 255
; ScratchSize: 0
; MemoryBound: 0
; FloatMode: 240
; IeeeMode: 1
; LDSByteSize: 21840 bytes/workgroup (compile time only)
; SGPRBlocks: 2
; VGPRBlocks: 31
; NumSGPRsForWavesPerEU: 18
; NumVGPRsForWavesPerEU: 255
; Occupancy: 5
; WaveLimiterHint : 1
; COMPUTE_PGM_RSRC2:SCRATCH_EN: 0
; COMPUTE_PGM_RSRC2:USER_SGPR: 2
; COMPUTE_PGM_RSRC2:TRAP_HANDLER: 0
; COMPUTE_PGM_RSRC2:TGID_X_EN: 1
; COMPUTE_PGM_RSRC2:TGID_Y_EN: 0
; COMPUTE_PGM_RSRC2:TGID_Z_EN: 0
; COMPUTE_PGM_RSRC2:TIDIG_COMP_CNT: 0
	.text
	.p2alignl 7, 3214868480
	.fill 96, 4, 3214868480
	.type	__hip_cuid_f84e0f01cd254e85,@object ; @__hip_cuid_f84e0f01cd254e85
	.section	.bss,"aw",@nobits
	.globl	__hip_cuid_f84e0f01cd254e85
__hip_cuid_f84e0f01cd254e85:
	.byte	0                               ; 0x0
	.size	__hip_cuid_f84e0f01cd254e85, 1

	.ident	"AMD clang version 19.0.0git (https://github.com/RadeonOpenCompute/llvm-project roc-6.4.0 25133 c7fe45cf4b819c5991fe208aaa96edf142730f1d)"
	.section	".note.GNU-stack","",@progbits
	.addrsig
	.addrsig_sym __hip_cuid_f84e0f01cd254e85
	.amdgpu_metadata
---
amdhsa.kernels:
  - .args:
      - .actual_access:  read_only
        .address_space:  global
        .offset:         0
        .size:           8
        .value_kind:     global_buffer
      - .actual_access:  read_only
        .address_space:  global
        .offset:         8
        .size:           8
        .value_kind:     global_buffer
      - .actual_access:  read_only
        .address_space:  global
        .offset:         16
        .size:           8
        .value_kind:     global_buffer
      - .actual_access:  read_only
        .address_space:  global
        .offset:         24
        .size:           8
        .value_kind:     global_buffer
      - .actual_access:  read_only
        .address_space:  global
        .offset:         32
        .size:           8
        .value_kind:     global_buffer
      - .offset:         40
        .size:           8
        .value_kind:     by_value
      - .address_space:  global
        .offset:         48
        .size:           8
        .value_kind:     global_buffer
      - .address_space:  global
        .offset:         56
        .size:           8
        .value_kind:     global_buffer
      - .address_space:  global
        .offset:         64
        .size:           8
        .value_kind:     global_buffer
      - .address_space:  global
        .offset:         72
        .size:           8
        .value_kind:     global_buffer
      - .offset:         80
        .size:           4
        .value_kind:     by_value
      - .address_space:  global
        .offset:         88
        .size:           8
        .value_kind:     global_buffer
      - .address_space:  global
        .offset:         96
        .size:           8
        .value_kind:     global_buffer
    .group_segment_fixed_size: 21840
    .kernarg_segment_align: 8
    .kernarg_segment_size: 104
    .language:       OpenCL C
    .language_version:
      - 2
      - 0
    .max_flat_workgroup_size: 182
    .name:           bluestein_single_fwd_len1365_dim1_sp_op_CI_CI
    .private_segment_fixed_size: 0
    .sgpr_count:     18
    .sgpr_spill_count: 0
    .symbol:         bluestein_single_fwd_len1365_dim1_sp_op_CI_CI.kd
    .uniform_work_group_size: 1
    .uses_dynamic_stack: false
    .vgpr_count:     255
    .vgpr_spill_count: 0
    .wavefront_size: 32
    .workgroup_processor_mode: 1
amdhsa.target:   amdgcn-amd-amdhsa--gfx1201
amdhsa.version:
  - 1
  - 2
...

	.end_amdgpu_metadata
